;; amdgpu-corpus repo=zjin-lcf/HeCBench kind=compiled arch=gfx906 opt=O3
	.amdgcn_target "amdgcn-amd-amdhsa--gfx906"
	.amdhsa_code_object_version 6
	.text
	.protected	_Z6lookupPKiPKdS0_PiS0_S2_PK6WindowPK4Poleiiiiii ; -- Begin function _Z6lookupPKiPKdS0_PiS0_S2_PK6WindowPK4Poleiiiiii
	.globl	_Z6lookupPKiPKdS0_PiS0_S2_PK6WindowPK4Poleiiiiii
	.p2align	8
	.type	_Z6lookupPKiPKdS0_PiS0_S2_PK6WindowPK4Poleiiiiii,@function
_Z6lookupPKiPKdS0_PiS0_S2_PK6WindowPK4Poleiiiiii: ; @_Z6lookupPKiPKdS0_PiS0_S2_PK6WindowPK4Poleiiiiii
; %bb.0:
	s_add_u32 s0, s0, s7
	s_load_dword s7, s[4:5], 0x64
	s_load_dwordx4 s[24:27], s[4:5], 0x40
	s_addc_u32 s1, s1, 0
	v_mov_b32_e32 v11, 0
	s_waitcnt lgkmcnt(0)
	s_and_b32 s7, s7, 0xffff
	s_mul_i32 s6, s6, s7
	v_add_u32_e32 v10, s6, v0
	s_ashr_i32 s7, s24, 31
	s_mov_b32 s6, s24
	v_cmp_gt_u64_e32 vcc, s[6:7], v[10:11]
	s_and_saveexec_b64 s[6:7], vcc
	s_cbranch_execz .LBB0_124
; %bb.1:
	s_load_dwordx8 s[8:15], s[4:5], 0x0
	s_load_dwordx8 s[16:23], s[4:5], 0x20
	s_load_dwordx2 s[6:7], s[4:5], 0x50
                                        ; implicit-def: $vgpr63 : SGPR spill to VGPR lane
	v_cmp_ne_u32_e32 vcc, 0, v10
	v_mov_b32_e32 v0, 0x4a2bcaa7
	v_mov_b32_e32 v3, 0x45df23cb
                                        ; kill: killed $sgpr4_sgpr5
	s_waitcnt lgkmcnt(0)
	v_writelane_b32 v63, s6, 0
	v_writelane_b32 v63, s7, 1
	s_and_saveexec_b64 s[4:5], vcc
	s_cbranch_execz .LBB0_7
; %bb.2:
	v_lshlrev_b64 v[2:3], 1, v[10:11]
	v_mov_b32_e32 v0, 1
	v_mov_b32_e32 v4, 0
	;; [unrolled: 1-line block ×3, first 2 shown]
	s_mov_b64 s[6:7], 0
	s_mov_b32 s33, 0x26f19d38
	s_mov_b32 s24, 0xe48e2825
	v_mov_b32_e32 v5, 0
	s_mov_b64 s[28:29], 1
	s_branch .LBB0_4
.LBB0_3:                                ;   in Loop: Header=BB0_4 Depth=1
	s_or_b64 exec, exec, s[30:31]
	s_add_u32 s30, s24, 1
	s_addc_u32 s31, s33, 0
	s_mul_i32 s29, s30, s29
	s_mul_hi_u32 s34, s30, s28
	s_add_i32 s29, s34, s29
	s_mul_i32 s31, s31, s28
	s_add_i32 s29, s29, s31
	s_mul_i32 s28, s30, s28
	s_mul_i32 s30, s24, s33
	s_mul_hi_u32 s31, s24, s24
	s_add_i32 s31, s31, s30
	v_cmp_gt_u64_e32 vcc, 2, v[2:3]
	s_add_i32 s33, s31, s30
	v_lshrrev_b64 v[2:3], 1, v[2:3]
	s_mul_i32 s24, s24, s24
	s_or_b64 s[6:7], vcc, s[6:7]
	s_andn2_b64 exec, exec, s[6:7]
	s_cbranch_execz .LBB0_6
.LBB0_4:                                ; =>This Inner Loop Header: Depth=1
	v_and_b32_e32 v6, 1, v2
	v_cmp_eq_u32_e32 vcc, 1, v6
	s_and_saveexec_b64 s[30:31], vcc
	s_cbranch_execz .LBB0_3
; %bb.5:                                ;   in Loop: Header=BB0_4 Depth=1
	v_mov_b32_e32 v6, s28
	v_mov_b32_e32 v7, s29
	v_mad_u64_u32 v[6:7], s[34:35], s24, v4, v[6:7]
	v_mul_lo_u32 v5, s24, v5
	v_mul_lo_u32 v4, s33, v4
	;; [unrolled: 1-line block ×4, first 2 shown]
	v_mad_u64_u32 v[0:1], s[34:35], s24, v0, 0
	v_add3_u32 v7, v4, v7, v5
	v_mov_b32_e32 v4, v6
	v_add3_u32 v1, v1, v9, v8
	v_mov_b32_e32 v5, v7
	s_branch .LBB0_3
.LBB0_6:
	s_or_b64 exec, exec, s[6:7]
	s_movk_i32 s24, 0x42e
	v_mad_u64_u32 v[2:3], s[6:7], v0, s24, v[4:5]
	v_mov_b32_e32 v0, v3
	v_mad_u64_u32 v[0:1], s[6:7], v1, s24, v[0:1]
	s_mov_b32 s6, 0x26f19d38
	s_mov_b32 s7, 0xe48e2825
	v_mul_lo_u32 v3, v2, s6
	v_mul_lo_u32 v4, v0, s7
	v_mad_u64_u32 v[0:1], s[6:7], v2, s7, 1
	v_add3_u32 v1, v4, v1, v3
	v_and_b32_e32 v3, 0x7fffffff, v1
.LBB0_7:
	s_or_b64 exec, exec, s[4:5]
	s_mov_b32 s6, 0xe48e2825
	v_mad_u64_u32 v[1:2], s[4:5], v0, s6, 1
	s_mov_b32 s4, 0x26f19d38
	v_mul_lo_u32 v4, v0, s4
	v_mul_lo_u32 v5, v3, s6
	s_movk_i32 s4, 0xffc1
	v_add3_u32 v2, v5, v2, v4
	v_and_b32_e32 v2, 0x7fffffff, v2
	v_cvt_f64_u32_e32 v[4:5], v2
	v_cvt_f64_u32_e32 v[1:2], v1
	v_ldexp_f64 v[4:5], v[4:5], 32
	v_add_f64 v[1:2], v[4:5], v[1:2]
	v_mov_b32_e32 v4, 1
	v_ldexp_f64 v[1:2], v[1:2], s4
	s_mov_b32 s4, 0x76c8b439
	s_mov_b32 s5, 0x3faa9fbe
	v_cmp_ngt_f64_e32 vcc, s[4:5], v[1:2]
	s_and_saveexec_b64 s[4:5], vcc
	s_cbranch_execz .LBB0_29
; %bb.8:
	s_mov_b32 s6, 0x6872b021
	s_mov_b32 s7, 0x3fd4ed91
	v_cmp_ngt_f64_e32 vcc, s[6:7], v[1:2]
	v_mov_b32_e32 v4, 2
	s_and_saveexec_b64 s[6:7], vcc
	s_cbranch_execz .LBB0_28
; %bb.9:
	s_mov_b32 s28, 0x24dd2f1b
	s_mov_b32 s29, 0x3fdd8106
	v_cmp_ngt_f64_e32 vcc, s[28:29], v[1:2]
	v_mov_b32_e32 v4, 3
	;; [unrolled: 7-line block ×10, first 2 shown]
	s_and_saveexec_b64 s[46:47], vcc
; %bb.18:
	v_mov_b32_e32 v4, 0
; %bb.19:
	s_or_b64 exec, exec, s[46:47]
.LBB0_20:
	s_or_b64 exec, exec, s[44:45]
.LBB0_21:
	s_or_b64 exec, exec, s[42:43]
.LBB0_22:
	s_or_b64 exec, exec, s[40:41]
.LBB0_23:
	s_or_b64 exec, exec, s[38:39]
.LBB0_24:
	s_or_b64 exec, exec, s[36:37]
.LBB0_25:
	s_or_b64 exec, exec, s[34:35]
.LBB0_26:
	s_or_b64 exec, exec, s[30:31]
.LBB0_27:
	s_or_b64 exec, exec, s[28:29]
.LBB0_28:
	s_or_b64 exec, exec, s[6:7]
.LBB0_29:
	s_or_b64 exec, exec, s[4:5]
	v_lshlrev_b32_e32 v1, 2, v4
	global_load_dword v37, v1, s[8:9]
	v_mov_b32_e32 v38, 0
	v_mov_b32_e32 v57, 0
	;; [unrolled: 1-line block ×4, first 2 shown]
	s_mov_b32 s33, 0
	v_mov_b32_e32 v39, 0
	v_mov_b32_e32 v58, 0
	;; [unrolled: 1-line block ×4, first 2 shown]
	s_waitcnt vmcnt(0)
	v_cmp_lt_i32_e32 vcc, 0, v37
	s_and_saveexec_b64 s[6:7], vcc
	s_cbranch_execz .LBB0_123
; %bb.30:
	v_cvt_f64_u32_e32 v[1:2], v3
	v_cvt_f64_u32_e32 v[5:6], v0
	s_movk_i32 s4, 0xffc1
	s_mov_b32 s34, 0
	v_ldexp_f64 v[1:2], v[1:2], 32
	s_brev_b32 s35, 8
	v_mov_b32_e32 v42, 0x100
	v_writelane_b32 v63, s6, 2
	v_writelane_b32 v63, s7, 3
	v_mov_b32_e32 v52, 0xffffff80
	v_mov_b32_e32 v53, 0x260
	buffer_store_dword v10, off, s[0:3], 0 offset:240 ; 4-byte Folded Spill
	s_nop 0
	buffer_store_dword v11, off, s[0:3], 0 offset:244 ; 4-byte Folded Spill
	v_add_f64 v[0:1], v[1:2], v[5:6]
	s_cmp_lg_u32 s25, 1
	v_mov_b32_e32 v38, 0
	s_mov_b32 s86, 0x54442d18
	s_mov_b32 s36, 0x33145c07
	;; [unrolled: 1-line block ×5, first 2 shown]
	v_ldexp_f64 v[40:41], v[0:1], s4
	v_readlane_b32 s4, v63, 0
	v_readlane_b32 s5, v63, 1
	v_mul_lo_u32 v43, v4, s5
	s_cselect_b64 s[4:5], -1, 0
	s_mov_b32 s44, 0x9037ab78
	s_mov_b32 s46, 0x46cc5e42
	;; [unrolled: 1-line block ×3, first 2 shown]
	v_cmp_gt_f64_e32 vcc, s[34:35], v[40:41]
	s_mov_b32 s50, 0x19f4ec90
	s_mov_b32 s52, 0x16c16967
	;; [unrolled: 1-line block ×7, first 2 shown]
	v_cndmask_b32_e32 v0, 0, v42, vcc
	v_ldexp_f64 v[0:1], v[40:41], v0
	s_mov_b32 s64, 0x11110bb3
	s_mov_b32 s68, 0xafdb7b46
	;; [unrolled: 1-line block ×6, first 2 shown]
	v_mov_b32_e32 v57, 0
	v_rsq_f64_e32 v[2:3], v[0:1]
	v_mov_b32_e32 v59, 0
	v_writelane_b32 v63, s4, 4
	s_mov_b32 s80, 0
	s_mov_b32 s82, 0
	;; [unrolled: 1-line block ×6, first 2 shown]
	v_mov_b32_e32 v39, 0
	v_mov_b32_e32 v54, s13
	;; [unrolled: 1-line block ×3, first 2 shown]
	s_mov_b32 s87, 0x3ff921fb
	s_mov_b32 s37, 0x3c91a626
	;; [unrolled: 1-line block ×4, first 2 shown]
	v_mul_f64 v[4:5], v[0:1], v[2:3]
	v_mul_f64 v[2:3], v[2:3], 0.5
	s_mov_b32 s43, 0xb97b839a
	s_mov_b32 s45, 0x3e21eeb6
	;; [unrolled: 1-line block ×7, first 2 shown]
	v_fma_f64 v[6:7], -v[2:3], v[4:5], 0.5
	s_mov_b32 s57, 0xbe5ae600
	s_mov_b32 s59, 0x3de5e0b2
	;; [unrolled: 1-line block ×7, first 2 shown]
	v_fma_f64 v[4:5], v[4:5], v[6:7], v[4:5]
	v_fma_f64 v[2:3], v[2:3], v[6:7], v[2:3]
	s_mov_b32 s73, 0xc005cc47
	s_mov_b32 s75, 0x3faa80fd
	;; [unrolled: 1-line block ×3, first 2 shown]
	v_mov_b32_e32 v61, 0x7ff80000
	v_mov_b32_e32 v58, 0
	;; [unrolled: 1-line block ×3, first 2 shown]
	v_fma_f64 v[6:7], -v[4:5], v[4:5], v[0:1]
	s_movk_i32 s13, 0xff80
	s_movk_i32 s67, 0x1f8
	;; [unrolled: 1-line block ×3, first 2 shown]
	v_writelane_b32 v63, s5, 5
	s_mov_b64 s[78:79], 0
	s_mov_b32 s81, 0x41d00000
	s_mov_b32 s83, 0x7b000000
	v_fma_f64 v[4:5], v[6:7], v[2:3], v[4:5]
	s_mov_b32 s85, 0x7ff00000
	s_mov_b32 s25, 0xbff921fb
	s_brev_b32 s89, 1
	s_mov_b32 s91, 0x40280000
	s_mov_b32 s93, 0x40620000
	;; [unrolled: 1-line block ×3, first 2 shown]
	v_fma_f64 v[6:7], -v[4:5], v[4:5], v[0:1]
	v_fma_f64 v[2:3], v[6:7], v[2:3], v[4:5]
	v_cndmask_b32_e32 v4, 0, v52, vcc
	v_cmp_class_f64_e32 vcc, v[0:1], v53
	v_mov_b32_e32 v6, 0
	v_mov_b32_e32 v7, 0
	v_ldexp_f64 v[2:3], v[2:3], v4
	v_cndmask_b32_e32 v30, v3, v1, vcc
	v_cndmask_b32_e32 v29, v2, v0, vcc
	v_mul_f64 v[0:1], v[40:41], v[40:41]
	buffer_store_dword v0, off, s[0:3], 0 offset:64 ; 4-byte Folded Spill
	s_nop 0
	buffer_store_dword v1, off, s[0:3], 0 offset:68 ; 4-byte Folded Spill
	v_mov_b32_e32 v0, 0x9037ab78
	v_mov_b32_e32 v1, 0x3e21eeb6
	buffer_store_dword v0, off, s[0:3], 0 offset:112 ; 4-byte Folded Spill
	s_nop 0
	buffer_store_dword v1, off, s[0:3], 0 offset:116 ; 4-byte Folded Spill
	v_mov_b32_e32 v0, 0xb42fdfa7
	v_mov_b32_e32 v1, 0xbe5ae600
	;; [unrolled: 5-line block ×4, first 2 shown]
	buffer_store_dword v0, off, s[0:3], 0 offset:180 ; 4-byte Folded Spill
	s_nop 0
	buffer_store_dword v1, off, s[0:3], 0 offset:184 ; 4-byte Folded Spill
	buffer_store_dword v29, off, s[0:3], 0 offset:72 ; 4-byte Folded Spill
	s_nop 0
	buffer_store_dword v30, off, s[0:3], 0 offset:76 ; 4-byte Folded Spill
	buffer_store_dword v37, off, s[0:3], 0 offset:228 ; 4-byte Folded Spill
	;; [unrolled: 1-line block ×3, first 2 shown]
	s_nop 0
	buffer_store_dword v41, off, s[0:3], 0 offset:168 ; 4-byte Folded Spill
	buffer_store_dword v43, off, s[0:3], 0 offset:232 ; 4-byte Folded Spill
	;; [unrolled: 1-line block ×3, first 2 shown]
	s_branch .LBB0_34
.LBB0_31:                               ;   in Loop: Header=BB0_34 Depth=1
	s_or_b64 exec, exec, s[96:97]
	buffer_load_dword v37, off, s[0:3], 0 offset:228 ; 4-byte Folded Reload
	buffer_load_dword v38, off, s[0:3], 0 offset:204 ; 4-byte Folded Reload
	;; [unrolled: 1-line block ×9, first 2 shown]
.LBB0_32:                               ;   in Loop: Header=BB0_34 Depth=1
	s_or_b64 exec, exec, s[8:9]
	v_add_f64 v[2:3], v[48:49], -v[50:51]
.LBB0_33:                               ;   in Loop: Header=BB0_34 Depth=1
	buffer_load_dword v4, off, s[0:3], 0 offset:196 ; 4-byte Folded Reload
	buffer_load_dword v5, off, s[0:3], 0 offset:200 ; 4-byte Folded Reload
	v_mov_b32_e32 v6, s11
	s_add_i32 s33, s33, 1
	s_waitcnt vmcnt(0)
	v_lshlrev_b64 v[4:5], 3, v[4:5]
	v_add_co_u32_e32 v4, vcc, s10, v4
	v_addc_co_u32_e32 v5, vcc, v6, v5, vcc
	global_load_dwordx2 v[4:5], v[4:5], off
	s_nop 0
	buffer_load_dword v6, off, s[0:3], 0 offset:188 ; 4-byte Folded Reload
	buffer_load_dword v7, off, s[0:3], 0 offset:192 ; 4-byte Folded Reload
	v_cmp_eq_u32_e32 vcc, s33, v37
	s_or_b64 s[78:79], vcc, s[78:79]
	s_waitcnt vmcnt(2)
	v_fma_f64 v[59:60], v[50:51], v[4:5], v[59:60]
	s_waitcnt vmcnt(0)
	v_fma_f64 v[6:7], v[48:49], v[4:5], v[6:7]
	v_fma_f64 v[57:58], v[0:1], v[4:5], v[57:58]
	;; [unrolled: 1-line block ×3, first 2 shown]
	s_andn2_b64 exec, exec, s[78:79]
	s_cbranch_execz .LBB0_122
.LBB0_34:                               ; =>This Loop Header: Depth=1
                                        ;     Child Loop BB0_69 Depth 2
                                        ;     Child Loop BB0_108 Depth 2
                                        ;       Child Loop BB0_120 Depth 3
	v_add_u32_e32 v0, s33, v43
	v_ashrrev_i32_e32 v1, 31, v0
	buffer_store_dword v6, off, s[0:3], 0 offset:188 ; 4-byte Folded Spill
	s_nop 0
	buffer_store_dword v7, off, s[0:3], 0 offset:192 ; 4-byte Folded Spill
	buffer_store_dword v0, off, s[0:3], 0 offset:196 ; 4-byte Folded Spill
	s_nop 0
	buffer_store_dword v1, off, s[0:3], 0 offset:200 ; 4-byte Folded Spill
	v_mov_b32_e32 v2, s17
	v_readlane_b32 s8, v63, 4
	v_readlane_b32 s9, v63, 5
	s_mov_b64 s[6:7], -1
                                        ; implicit-def: $vgpr48_vgpr49
                                        ; implicit-def: $vgpr50_vgpr51
	v_lshlrev_b64 v[0:1], 2, v[0:1]
	v_add_co_u32_e32 v0, vcc, s12, v0
	v_addc_co_u32_e32 v1, vcc, v54, v1, vcc
	global_load_dword v44, v[0:1], off
	s_waitcnt vmcnt(0)
	v_ashrrev_i32_e32 v45, 31, v44
	v_lshlrev_b64 v[0:1], 2, v[44:45]
	v_add_co_u32_e32 v0, vcc, s16, v0
	v_addc_co_u32_e32 v1, vcc, v2, v1, vcc
	global_load_dword v10, v[0:1], off
	s_waitcnt vmcnt(0)
	v_cvt_f64_i32_e32 v[0:1], v10
	v_div_scale_f64 v[2:3], s[4:5], v[0:1], v[0:1], 1.0
	v_rcp_f64_e32 v[4:5], v[2:3]
	v_fma_f64 v[6:7], -v[2:3], v[4:5], 1.0
	v_fma_f64 v[4:5], v[4:5], v[6:7], v[4:5]
	v_fma_f64 v[6:7], -v[2:3], v[4:5], 1.0
	v_fma_f64 v[4:5], v[4:5], v[6:7], v[4:5]
	v_div_scale_f64 v[6:7], vcc, 1.0, v[0:1], 1.0
	v_mul_f64 v[8:9], v[6:7], v[4:5]
	v_fma_f64 v[2:3], -v[2:3], v[8:9], v[6:7]
	s_nop 1
	v_div_fmas_f64 v[2:3], v[2:3], v[4:5], v[8:9]
	v_div_fixup_f64 v[0:1], v[2:3], v[0:1], 1.0
	v_div_scale_f64 v[2:3], s[4:5], v[0:1], v[0:1], v[40:41]
	v_rcp_f64_e32 v[4:5], v[2:3]
	v_fma_f64 v[6:7], -v[2:3], v[4:5], 1.0
	v_fma_f64 v[4:5], v[4:5], v[6:7], v[4:5]
	v_fma_f64 v[6:7], -v[2:3], v[4:5], 1.0
	v_fma_f64 v[4:5], v[4:5], v[6:7], v[4:5]
	v_div_scale_f64 v[6:7], vcc, v[40:41], v[0:1], v[40:41]
	v_mul_f64 v[8:9], v[6:7], v[4:5]
	v_fma_f64 v[2:3], -v[2:3], v[8:9], v[6:7]
	s_nop 1
	v_div_fmas_f64 v[2:3], v[2:3], v[4:5], v[8:9]
	v_div_fixup_f64 v[0:1], v[2:3], v[0:1], v[40:41]
                                        ; implicit-def: $vgpr2_vgpr3
	v_cvt_i32_f64_e32 v45, v[0:1]
	v_mul_lo_u32 v0, v44, s26
	v_cmp_eq_u32_e64 s[4:5], v10, v45
	v_ashrrev_i32_e32 v1, 31, v0
	v_lshlrev_b64 v[0:1], 3, v[0:1]
	v_add_co_u32_e32 v46, vcc, s18, v0
	v_mov_b32_e32 v0, s19
	v_addc_co_u32_e32 v47, vcc, v0, v1, vcc
	s_and_b64 vcc, exec, s[8:9]
                                        ; implicit-def: $vgpr0_vgpr1
	s_cbranch_vccz .LBB0_72
; %bb.35:                               ;   in Loop: Header=BB0_34 Depth=1
	global_load_dwordx2 v[0:1], v[46:47], off
                                        ; implicit-def: $vgpr19
                                        ; implicit-def: $vgpr10_vgpr11
                                        ; implicit-def: $vgpr12_vgpr13
	s_waitcnt vmcnt(0)
	v_mul_f64 v[0:1], v[29:30], v[0:1]
	v_add_f64 v[0:1], v[0:1], v[0:1]
	v_trig_preop_f64 v[6:7], |v[0:1]|, 0
	v_trig_preop_f64 v[4:5], |v[0:1]|, 1
	;; [unrolled: 1-line block ×3, first 2 shown]
	v_cmp_nlt_f64_e64 s[8:9], |v[0:1]|, s[80:81]
	v_ldexp_f64 v[8:9], |v[0:1]|, s13
	v_and_b32_e32 v18, 0x7fffffff, v1
	s_and_saveexec_b64 s[6:7], s[8:9]
	s_xor_b64 s[28:29], exec, s[6:7]
	s_cbranch_execz .LBB0_37
; %bb.36:                               ;   in Loop: Header=BB0_34 Depth=1
	v_cmp_ge_f64_e64 vcc, |v[0:1]|, s[82:83]
	v_cndmask_b32_e32 v15, v18, v9, vcc
	v_cndmask_b32_e32 v14, v0, v8, vcc
	v_mul_f64 v[19:20], v[6:7], v[14:15]
	v_mul_f64 v[10:11], v[4:5], v[14:15]
	;; [unrolled: 1-line block ×3, first 2 shown]
	v_fma_f64 v[21:22], v[6:7], v[14:15], -v[19:20]
	v_add_f64 v[23:24], v[10:11], v[21:22]
	v_add_f64 v[27:28], v[23:24], -v[10:11]
	v_add_f64 v[25:26], v[19:20], v[23:24]
	v_add_f64 v[21:22], v[21:22], -v[27:28]
	v_add_f64 v[27:28], v[23:24], -v[27:28]
	v_ldexp_f64 v[12:13], v[25:26], -2
	v_add_f64 v[27:28], v[10:11], -v[27:28]
	v_fract_f64_e32 v[16:17], v[12:13]
	v_cmp_neq_f64_e64 vcc, |v[12:13]|, s[84:85]
	v_add_f64 v[21:22], v[21:22], v[27:28]
	v_fma_f64 v[27:28], v[4:5], v[14:15], -v[10:11]
	v_add_f64 v[10:11], v[25:26], -v[19:20]
	v_ldexp_f64 v[16:17], v[16:17], 2
	v_fma_f64 v[14:15], v[2:3], v[14:15], -v[29:30]
	v_add_f64 v[31:32], v[29:30], v[27:28]
	v_add_f64 v[19:20], v[23:24], -v[10:11]
	v_cndmask_b32_e32 v13, 0, v17, vcc
	v_cndmask_b32_e32 v12, 0, v16, vcc
	v_add_f64 v[33:34], v[31:32], v[21:22]
	v_add_f64 v[23:24], v[33:34], -v[31:32]
	v_add_f64 v[10:11], v[19:20], v[33:34]
	v_add_f64 v[21:22], v[21:22], -v[23:24]
	v_add_f64 v[23:24], v[33:34], -v[23:24]
	v_add_f64 v[16:17], v[10:11], v[12:13]
	v_add_f64 v[19:20], v[10:11], -v[19:20]
	v_add_f64 v[23:24], v[31:32], -v[23:24]
	v_cmp_gt_f64_e32 vcc, 0, v[16:17]
	v_mov_b32_e32 v16, 0x40100000
	v_add_f64 v[19:20], v[33:34], -v[19:20]
	v_add_f64 v[21:22], v[21:22], v[23:24]
	v_add_f64 v[23:24], v[31:32], -v[29:30]
	v_cndmask_b32_e32 v56, 0, v16, vcc
	v_add_f64 v[12:13], v[12:13], v[55:56]
	v_add_f64 v[25:26], v[27:28], -v[23:24]
	v_add_f64 v[23:24], v[31:32], -v[23:24]
	v_add_f64 v[16:17], v[10:11], v[12:13]
	v_add_f64 v[23:24], v[29:30], -v[23:24]
	buffer_load_dword v29, off, s[0:3], 0 offset:72 ; 4-byte Folded Reload
	buffer_load_dword v30, off, s[0:3], 0 offset:76 ; 4-byte Folded Reload
	v_add_f64 v[23:24], v[25:26], v[23:24]
	v_add_f64 v[21:22], v[23:24], v[21:22]
	v_add_f64 v[14:15], v[14:15], v[21:22]
	v_add_f64 v[14:15], v[19:20], v[14:15]
	v_cvt_i32_f64_e32 v19, v[16:17]
	v_cvt_f64_i32_e32 v[16:17], v19
	v_add_f64 v[12:13], v[12:13], -v[16:17]
	v_add_f64 v[16:17], v[10:11], v[12:13]
	v_add_f64 v[12:13], v[16:17], -v[12:13]
	v_cmp_le_f64_e32 vcc, 0.5, v[16:17]
	v_add_f64 v[10:11], v[10:11], -v[12:13]
	v_mov_b32_e32 v12, 0x3ff00000
	v_cndmask_b32_e32 v56, 0, v12, vcc
	v_add_f64 v[12:13], v[16:17], -v[55:56]
	v_addc_co_u32_e64 v19, s[6:7], 0, v19, vcc
	v_add_f64 v[10:11], v[14:15], v[10:11]
	v_add_f64 v[14:15], v[12:13], v[10:11]
	v_add_f64 v[12:13], v[14:15], -v[12:13]
	v_add_f64 v[10:11], v[10:11], -v[12:13]
	v_mul_f64 v[12:13], v[14:15], s[86:87]
	v_fma_f64 v[16:17], v[14:15], s[86:87], -v[12:13]
	v_fma_f64 v[14:15], v[14:15], s[36:37], v[16:17]
	v_fma_f64 v[14:15], v[10:11], s[86:87], v[14:15]
	v_add_f64 v[10:11], v[12:13], v[14:15]
	v_add_f64 v[12:13], v[10:11], -v[12:13]
	v_add_f64 v[12:13], v[14:15], -v[12:13]
.LBB0_37:                               ;   in Loop: Header=BB0_34 Depth=1
	s_andn2_saveexec_b64 s[6:7], s[28:29]
	s_cbranch_execz .LBB0_39
; %bb.38:                               ;   in Loop: Header=BB0_34 Depth=1
	v_mul_f64 v[10:11], |v[0:1]|, s[38:39]
	s_mov_b32 s24, s86
	s_mov_b32 s28, s40
	;; [unrolled: 1-line block ×3, first 2 shown]
	v_rndne_f64_e32 v[14:15], v[10:11]
	v_fma_f64 v[10:11], v[14:15], s[24:25], |v[0:1]|
	v_mul_f64 v[12:13], v[14:15], s[40:41]
	v_fma_f64 v[21:22], v[14:15], s[40:41], v[10:11]
	v_add_f64 v[16:17], v[10:11], v[12:13]
	v_add_f64 v[19:20], v[10:11], -v[16:17]
	v_add_f64 v[16:17], v[16:17], -v[21:22]
	v_add_f64 v[10:11], v[19:20], v[12:13]
	v_fma_f64 v[12:13], v[14:15], s[28:29], v[12:13]
	v_cvt_i32_f64_e32 v19, v[14:15]
	v_add_f64 v[10:11], v[16:17], v[10:11]
	v_add_f64 v[10:11], v[10:11], -v[12:13]
	v_fma_f64 v[12:13], v[14:15], s[42:43], v[10:11]
	v_add_f64 v[10:11], v[21:22], v[12:13]
	v_add_f64 v[16:17], v[10:11], -v[21:22]
	v_add_f64 v[12:13], v[12:13], -v[16:17]
.LBB0_39:                               ;   in Loop: Header=BB0_34 Depth=1
	s_or_b64 exec, exec, s[6:7]
	buffer_load_dword v24, off, s[0:3], 0 offset:112 ; 4-byte Folded Reload
	buffer_load_dword v25, off, s[0:3], 0 offset:116 ; 4-byte Folded Reload
	v_mul_f64 v[16:17], v[10:11], v[10:11]
	s_mov_b32 s54, s94
	v_mul_f64 v[14:15], v[16:17], 0.5
	v_add_f64 v[20:21], -v[14:15], 1.0
	v_add_f64 v[22:23], -v[20:21], 1.0
	v_add_f64 v[14:15], v[22:23], -v[14:15]
	v_mul_f64 v[22:23], v[16:17], v[16:17]
	v_fma_f64 v[14:15], v[10:11], -v[12:13], v[14:15]
	s_waitcnt vmcnt(0)
	v_fma_f64 v[24:25], v[16:17], s[46:47], v[24:25]
	v_fma_f64 v[24:25], v[16:17], v[24:25], s[48:49]
	;; [unrolled: 1-line block ×6, first 2 shown]
	v_mul_f64 v[22:23], v[10:11], -v[16:17]
	v_mul_f64 v[24:25], v[12:13], 0.5
	v_add_f64 v[14:15], v[20:21], v[14:15]
	buffer_load_dword v20, off, s[0:3], 0 offset:120 ; 4-byte Folded Reload
	buffer_load_dword v21, off, s[0:3], 0 offset:124 ; 4-byte Folded Reload
	s_waitcnt vmcnt(0)
	v_fma_f64 v[20:21], v[16:17], s[58:59], v[20:21]
	v_fma_f64 v[20:21], v[16:17], v[20:21], s[60:61]
	;; [unrolled: 1-line block ×5, first 2 shown]
	v_fma_f64 v[12:13], v[16:17], v[20:21], -v[12:13]
	v_fma_f64 v[12:13], v[22:23], s[54:55], v[12:13]
	v_add_f64 v[10:11], v[10:11], -v[12:13]
	v_and_b32_e32 v12, 1, v19
	v_cmp_eq_u32_e32 vcc, 0, v12
	v_lshlrev_b32_e32 v12, 30, v19
	v_and_b32_e32 v12, 0x80000000, v12
	v_xor_b32_e32 v11, 0x80000000, v11
	v_cndmask_b32_e32 v10, v10, v14, vcc
	v_cndmask_b32_e32 v11, v11, v15, vcc
	v_cmp_class_f64_e64 vcc, v[0:1], s67
	v_xor_b32_e32 v11, v11, v12
                                        ; implicit-def: $vgpr14
                                        ; implicit-def: $vgpr12_vgpr13
	v_cndmask_b32_e32 v11, v61, v11, vcc
	v_cndmask_b32_e32 v10, 0, v10, vcc
	buffer_store_dword v10, off, s[0:3], 0
	buffer_store_dword v11, off, s[0:3], 0 offset:4
                                        ; implicit-def: $vgpr10_vgpr11
	s_and_saveexec_b64 s[6:7], s[8:9]
	s_xor_b64 s[28:29], exec, s[6:7]
	s_cbranch_execz .LBB0_41
; %bb.40:                               ;   in Loop: Header=BB0_34 Depth=1
	v_cmp_ge_f64_e64 s[6:7], |v[0:1]|, s[82:83]
	v_cndmask_b32_e64 v11, v18, v9, s[6:7]
	v_cndmask_b32_e64 v10, v0, v8, s[6:7]
	v_mul_f64 v[14:15], v[6:7], v[10:11]
	v_mul_f64 v[12:13], v[4:5], v[10:11]
	v_fma_f64 v[16:17], v[6:7], v[10:11], -v[14:15]
	v_add_f64 v[18:19], v[12:13], v[16:17]
	v_add_f64 v[22:23], v[18:19], -v[12:13]
	v_add_f64 v[20:21], v[14:15], v[18:19]
	v_add_f64 v[16:17], v[16:17], -v[22:23]
	v_add_f64 v[22:23], v[18:19], -v[22:23]
	v_ldexp_f64 v[6:7], v[20:21], -2
	v_add_f64 v[22:23], v[12:13], -v[22:23]
	v_fma_f64 v[12:13], v[4:5], v[10:11], -v[12:13]
	v_add_f64 v[4:5], v[20:21], -v[14:15]
	v_fract_f64_e32 v[8:9], v[6:7]
	v_cmp_neq_f64_e64 s[6:7], |v[6:7]|, s[84:85]
	v_add_f64 v[16:17], v[16:17], v[22:23]
	v_mul_f64 v[22:23], v[2:3], v[10:11]
	v_add_f64 v[14:15], v[18:19], -v[4:5]
	v_ldexp_f64 v[8:9], v[8:9], 2
	v_add_f64 v[24:25], v[22:23], v[12:13]
	v_fma_f64 v[2:3], v[2:3], v[10:11], -v[22:23]
	v_cndmask_b32_e64 v7, 0, v9, s[6:7]
	v_cndmask_b32_e64 v6, 0, v8, s[6:7]
	v_add_f64 v[26:27], v[24:25], v[16:17]
	v_add_f64 v[4:5], v[14:15], v[26:27]
	v_add_f64 v[18:19], v[26:27], -v[24:25]
	v_add_f64 v[8:9], v[4:5], v[6:7]
	v_add_f64 v[16:17], v[16:17], -v[18:19]
	v_add_f64 v[18:19], v[26:27], -v[18:19]
	;; [unrolled: 1-line block ×3, first 2 shown]
	v_cmp_gt_f64_e64 s[6:7], 0, v[8:9]
	v_mov_b32_e32 v8, 0x40100000
	v_add_f64 v[18:19], v[24:25], -v[18:19]
	v_add_f64 v[14:15], v[26:27], -v[14:15]
	v_cndmask_b32_e64 v56, 0, v8, s[6:7]
	v_add_f64 v[6:7], v[6:7], v[55:56]
	v_add_f64 v[16:17], v[16:17], v[18:19]
	v_add_f64 v[18:19], v[24:25], -v[22:23]
	v_add_f64 v[8:9], v[4:5], v[6:7]
	v_add_f64 v[12:13], v[12:13], -v[18:19]
	v_add_f64 v[18:19], v[24:25], -v[18:19]
	v_cvt_i32_f64_e32 v10, v[8:9]
	v_add_f64 v[18:19], v[22:23], -v[18:19]
	v_cvt_f64_i32_e32 v[8:9], v10
	v_add_f64 v[6:7], v[6:7], -v[8:9]
	v_add_f64 v[12:13], v[12:13], v[18:19]
	v_add_f64 v[8:9], v[4:5], v[6:7]
	;; [unrolled: 1-line block ×3, first 2 shown]
	v_add_f64 v[6:7], v[8:9], -v[6:7]
	v_cmp_le_f64_e64 s[6:7], 0.5, v[8:9]
	v_add_f64 v[2:3], v[2:3], v[12:13]
	v_add_f64 v[4:5], v[4:5], -v[6:7]
	v_add_f64 v[2:3], v[14:15], v[2:3]
	v_addc_co_u32_e64 v14, s[8:9], 0, v10, s[6:7]
	v_add_f64 v[2:3], v[2:3], v[4:5]
	v_mov_b32_e32 v4, 0x3ff00000
	v_cndmask_b32_e64 v56, 0, v4, s[6:7]
	v_add_f64 v[4:5], v[8:9], -v[55:56]
	v_add_f64 v[6:7], v[4:5], v[2:3]
	v_add_f64 v[4:5], v[6:7], -v[4:5]
	v_add_f64 v[2:3], v[2:3], -v[4:5]
	v_mul_f64 v[4:5], v[6:7], s[86:87]
	v_fma_f64 v[8:9], v[6:7], s[86:87], -v[4:5]
	v_fma_f64 v[6:7], v[6:7], s[36:37], v[8:9]
	v_fma_f64 v[2:3], v[2:3], s[86:87], v[6:7]
	v_add_f64 v[10:11], v[4:5], v[2:3]
	v_add_f64 v[4:5], v[10:11], -v[4:5]
	v_add_f64 v[12:13], v[2:3], -v[4:5]
.LBB0_41:                               ;   in Loop: Header=BB0_34 Depth=1
	s_andn2_saveexec_b64 s[6:7], s[28:29]
	s_cbranch_execz .LBB0_43
; %bb.42:                               ;   in Loop: Header=BB0_34 Depth=1
	v_mul_f64 v[2:3], |v[0:1]|, s[38:39]
	s_mov_b32 s24, s86
	s_mov_b32 s8, s40
	;; [unrolled: 1-line block ×3, first 2 shown]
	v_rndne_f64_e32 v[2:3], v[2:3]
	v_fma_f64 v[4:5], v[2:3], s[24:25], |v[0:1]|
	v_mul_f64 v[6:7], v[2:3], s[40:41]
	v_cvt_i32_f64_e32 v14, v[2:3]
	v_add_f64 v[8:9], v[4:5], v[6:7]
	v_add_f64 v[10:11], v[4:5], -v[8:9]
	v_fma_f64 v[4:5], v[2:3], s[40:41], v[4:5]
	v_add_f64 v[10:11], v[10:11], v[6:7]
	v_add_f64 v[8:9], v[8:9], -v[4:5]
	v_fma_f64 v[6:7], v[2:3], s[8:9], v[6:7]
	v_add_f64 v[8:9], v[8:9], v[10:11]
	v_add_f64 v[6:7], v[8:9], -v[6:7]
	v_fma_f64 v[6:7], v[2:3], s[42:43], v[6:7]
	v_add_f64 v[10:11], v[4:5], v[6:7]
	v_add_f64 v[4:5], v[10:11], -v[4:5]
	v_add_f64 v[12:13], v[6:7], -v[4:5]
.LBB0_43:                               ;   in Loop: Header=BB0_34 Depth=1
	s_or_b64 exec, exec, s[6:7]
	buffer_load_dword v15, off, s[0:3], 0 offset:112 ; 4-byte Folded Reload
	buffer_load_dword v16, off, s[0:3], 0 offset:116 ; 4-byte Folded Reload
	v_mul_f64 v[2:3], v[10:11], v[10:11]
	s_mov_b32 s54, s94
	v_and_b32_e32 v0, 1, v14
	v_cmp_eq_u32_e64 s[6:7], 0, v0
                                        ; implicit-def: $vgpr19
	v_mul_f64 v[4:5], v[2:3], 0.5
	v_add_f64 v[6:7], -v[4:5], 1.0
	v_add_f64 v[8:9], -v[6:7], 1.0
	v_add_f64 v[4:5], v[8:9], -v[4:5]
	v_mul_f64 v[8:9], v[2:3], v[2:3]
	v_fma_f64 v[4:5], v[10:11], -v[12:13], v[4:5]
	s_waitcnt vmcnt(0)
	v_fma_f64 v[15:16], v[2:3], s[46:47], v[15:16]
	v_fma_f64 v[15:16], v[2:3], v[15:16], s[48:49]
	;; [unrolled: 1-line block ×6, first 2 shown]
	v_mul_f64 v[8:9], v[10:11], -v[2:3]
	v_mul_f64 v[15:16], v[12:13], 0.5
	v_add_f64 v[4:5], v[6:7], v[4:5]
	buffer_load_dword v6, off, s[0:3], 0 offset:120 ; 4-byte Folded Reload
	buffer_load_dword v7, off, s[0:3], 0 offset:124 ; 4-byte Folded Reload
	s_waitcnt vmcnt(0)
	v_fma_f64 v[6:7], v[2:3], s[58:59], v[6:7]
	v_fma_f64 v[6:7], v[2:3], v[6:7], s[60:61]
	;; [unrolled: 1-line block ×5, first 2 shown]
	v_fma_f64 v[2:3], v[2:3], v[6:7], -v[12:13]
	v_fma_f64 v[2:3], v[8:9], s[54:55], v[2:3]
	v_add_f64 v[2:3], v[10:11], -v[2:3]
	v_cndmask_b32_e64 v0, v4, v2, s[6:7]
	v_cndmask_b32_e64 v2, v5, v3, s[6:7]
	v_lshlrev_b32_e32 v3, 30, v14
	v_xor_b32_e32 v1, v3, v1
	v_and_b32_e32 v1, 0x80000000, v1
	v_xor_b32_e32 v1, v2, v1
	v_cndmask_b32_e32 v0, 0, v0, vcc
	v_mov_b32_e32 v2, 0xfff80000
	v_cndmask_b32_e64 v1, v2, -v1, vcc
	buffer_store_dword v0, off, s[0:3], 0 offset:8
	buffer_store_dword v1, off, s[0:3], 0 offset:12
	global_load_dwordx2 v[0:1], v[46:47], off offset:8
	s_waitcnt vmcnt(0)
	v_mul_f64 v[2:3], v[29:30], v[0:1]
	v_and_b32_e32 v5, 0x7fffffff, v3
	v_mov_b32_e32 v4, v2
	v_div_scale_f64 v[6:7], s[8:9], v[4:5], v[4:5], 1.0
	v_cmp_gt_f64_e64 s[6:7], |v[2:3]|, 1.0
	s_mov_b32 s8, 0xb5e68a13
	s_mov_b32 s9, 0x3eeba404
	v_rcp_f64_e32 v[8:9], v[6:7]
	v_fma_f64 v[10:11], -v[6:7], v[8:9], 1.0
	v_fma_f64 v[8:9], v[8:9], v[10:11], v[8:9]
	v_fma_f64 v[10:11], -v[6:7], v[8:9], 1.0
	v_fma_f64 v[8:9], v[8:9], v[10:11], v[8:9]
	v_div_scale_f64 v[10:11], vcc, 1.0, v[4:5], 1.0
	v_mul_f64 v[12:13], v[10:11], v[8:9]
	v_fma_f64 v[6:7], -v[6:7], v[12:13], v[10:11]
                                        ; implicit-def: $vgpr10_vgpr11
	s_nop 1
	v_div_fmas_f64 v[6:7], v[6:7], v[8:9], v[12:13]
	buffer_load_dword v8, off, s[0:3], 0 offset:172 ; 4-byte Folded Reload
	buffer_load_dword v9, off, s[0:3], 0 offset:176 ; 4-byte Folded Reload
                                        ; implicit-def: $vgpr12_vgpr13
	v_div_fixup_f64 v[6:7], v[6:7], |v[2:3]|, 1.0
	v_cndmask_b32_e64 v5, v5, v7, s[6:7]
	v_cndmask_b32_e64 v4, v2, v6, s[6:7]
	v_mul_f64 v[6:7], v[4:5], v[4:5]
	s_waitcnt vmcnt(0)
	v_fma_f64 v[8:9], v[6:7], s[8:9], v[8:9]
	s_mov_b32 s8, 0x69efb384
	s_mov_b32 s9, 0x3f4b2bb0
	v_fma_f64 v[8:9], v[6:7], v[8:9], s[8:9]
	s_mov_b32 s8, 0xaf56de9b
	s_mov_b32 s9, 0xbf67952d
	;; [unrolled: 3-line block ×19, first 2 shown]
	v_mul_f64 v[6:7], v[6:7], v[8:9]
	v_fma_f64 v[4:5], v[4:5], v[6:7], v[4:5]
	buffer_load_dword v6, off, s[0:3], 0 offset:180 ; 4-byte Folded Reload
	buffer_load_dword v7, off, s[0:3], 0 offset:184 ; 4-byte Folded Reload
	s_waitcnt vmcnt(0)
	v_fma_f64 v[6:7], s[8:9], v[6:7], -v[4:5]
	v_cndmask_b32_e64 v2, v4, v6, s[6:7]
	v_cndmask_b32_e64 v4, v5, v7, s[6:7]
	s_brev_b32 s6, -2
	v_bfi_b32 v3, s6, v4, v3
	v_fma_f64 v[0:1], v[29:30], v[0:1], v[2:3]
	v_add_f64 v[0:1], v[0:1], v[0:1]
	v_trig_preop_f64 v[6:7], |v[0:1]|, 0
	v_trig_preop_f64 v[4:5], |v[0:1]|, 1
	;; [unrolled: 1-line block ×3, first 2 shown]
	v_cmp_nlt_f64_e64 s[8:9], |v[0:1]|, s[80:81]
	v_ldexp_f64 v[8:9], |v[0:1]|, s13
	v_and_b32_e32 v18, 0x7fffffff, v1
	s_and_saveexec_b64 s[6:7], s[8:9]
	s_xor_b64 s[28:29], exec, s[6:7]
	s_cbranch_execz .LBB0_45
; %bb.44:                               ;   in Loop: Header=BB0_34 Depth=1
	v_cmp_ge_f64_e64 vcc, |v[0:1]|, s[82:83]
	v_cndmask_b32_e32 v15, v18, v9, vcc
	v_cndmask_b32_e32 v14, v0, v8, vcc
	v_mul_f64 v[19:20], v[6:7], v[14:15]
	v_mul_f64 v[10:11], v[4:5], v[14:15]
	v_mul_f64 v[29:30], v[2:3], v[14:15]
	v_fma_f64 v[21:22], v[6:7], v[14:15], -v[19:20]
	v_add_f64 v[23:24], v[10:11], v[21:22]
	v_add_f64 v[27:28], v[23:24], -v[10:11]
	v_add_f64 v[25:26], v[19:20], v[23:24]
	v_add_f64 v[21:22], v[21:22], -v[27:28]
	v_add_f64 v[27:28], v[23:24], -v[27:28]
	v_ldexp_f64 v[12:13], v[25:26], -2
	v_add_f64 v[27:28], v[10:11], -v[27:28]
	v_fract_f64_e32 v[16:17], v[12:13]
	v_cmp_neq_f64_e64 vcc, |v[12:13]|, s[84:85]
	v_add_f64 v[21:22], v[21:22], v[27:28]
	v_fma_f64 v[27:28], v[4:5], v[14:15], -v[10:11]
	v_add_f64 v[10:11], v[25:26], -v[19:20]
	v_ldexp_f64 v[16:17], v[16:17], 2
	v_fma_f64 v[14:15], v[2:3], v[14:15], -v[29:30]
	v_add_f64 v[31:32], v[29:30], v[27:28]
	v_add_f64 v[19:20], v[23:24], -v[10:11]
	v_cndmask_b32_e32 v13, 0, v17, vcc
	v_cndmask_b32_e32 v12, 0, v16, vcc
	v_add_f64 v[33:34], v[31:32], v[21:22]
	v_add_f64 v[23:24], v[33:34], -v[31:32]
	v_add_f64 v[10:11], v[19:20], v[33:34]
	v_add_f64 v[21:22], v[21:22], -v[23:24]
	v_add_f64 v[23:24], v[33:34], -v[23:24]
	v_add_f64 v[16:17], v[10:11], v[12:13]
	v_add_f64 v[19:20], v[10:11], -v[19:20]
	v_add_f64 v[23:24], v[31:32], -v[23:24]
	v_cmp_gt_f64_e32 vcc, 0, v[16:17]
	v_mov_b32_e32 v16, 0x40100000
	v_add_f64 v[19:20], v[33:34], -v[19:20]
	v_add_f64 v[21:22], v[21:22], v[23:24]
	v_add_f64 v[23:24], v[31:32], -v[29:30]
	v_cndmask_b32_e32 v56, 0, v16, vcc
	v_add_f64 v[12:13], v[12:13], v[55:56]
	v_add_f64 v[25:26], v[27:28], -v[23:24]
	v_add_f64 v[23:24], v[31:32], -v[23:24]
	v_add_f64 v[16:17], v[10:11], v[12:13]
	v_add_f64 v[23:24], v[29:30], -v[23:24]
	buffer_load_dword v29, off, s[0:3], 0 offset:72 ; 4-byte Folded Reload
	buffer_load_dword v30, off, s[0:3], 0 offset:76 ; 4-byte Folded Reload
	v_add_f64 v[23:24], v[25:26], v[23:24]
	v_add_f64 v[21:22], v[23:24], v[21:22]
	;; [unrolled: 1-line block ×4, first 2 shown]
	v_cvt_i32_f64_e32 v19, v[16:17]
	v_cvt_f64_i32_e32 v[16:17], v19
	v_add_f64 v[12:13], v[12:13], -v[16:17]
	v_add_f64 v[16:17], v[10:11], v[12:13]
	v_add_f64 v[12:13], v[16:17], -v[12:13]
	v_cmp_le_f64_e32 vcc, 0.5, v[16:17]
	v_add_f64 v[10:11], v[10:11], -v[12:13]
	v_mov_b32_e32 v12, 0x3ff00000
	v_cndmask_b32_e32 v56, 0, v12, vcc
	v_add_f64 v[12:13], v[16:17], -v[55:56]
	v_addc_co_u32_e64 v19, s[6:7], 0, v19, vcc
	v_add_f64 v[10:11], v[14:15], v[10:11]
	v_add_f64 v[14:15], v[12:13], v[10:11]
	v_add_f64 v[12:13], v[14:15], -v[12:13]
	v_add_f64 v[10:11], v[10:11], -v[12:13]
	v_mul_f64 v[12:13], v[14:15], s[86:87]
	v_fma_f64 v[16:17], v[14:15], s[86:87], -v[12:13]
	v_fma_f64 v[14:15], v[14:15], s[36:37], v[16:17]
	v_fma_f64 v[14:15], v[10:11], s[86:87], v[14:15]
	v_add_f64 v[10:11], v[12:13], v[14:15]
	v_add_f64 v[12:13], v[10:11], -v[12:13]
	v_add_f64 v[12:13], v[14:15], -v[12:13]
.LBB0_45:                               ;   in Loop: Header=BB0_34 Depth=1
	s_andn2_saveexec_b64 s[6:7], s[28:29]
	s_cbranch_execz .LBB0_47
; %bb.46:                               ;   in Loop: Header=BB0_34 Depth=1
	v_mul_f64 v[10:11], |v[0:1]|, s[38:39]
	s_mov_b32 s24, s86
	s_mov_b32 s28, s40
	;; [unrolled: 1-line block ×3, first 2 shown]
	v_rndne_f64_e32 v[14:15], v[10:11]
	v_fma_f64 v[10:11], v[14:15], s[24:25], |v[0:1]|
	v_mul_f64 v[12:13], v[14:15], s[40:41]
	v_fma_f64 v[21:22], v[14:15], s[40:41], v[10:11]
	v_add_f64 v[16:17], v[10:11], v[12:13]
	v_add_f64 v[19:20], v[10:11], -v[16:17]
	v_add_f64 v[16:17], v[16:17], -v[21:22]
	v_add_f64 v[10:11], v[19:20], v[12:13]
	v_fma_f64 v[12:13], v[14:15], s[28:29], v[12:13]
	v_cvt_i32_f64_e32 v19, v[14:15]
	v_add_f64 v[10:11], v[16:17], v[10:11]
	v_add_f64 v[10:11], v[10:11], -v[12:13]
	v_fma_f64 v[12:13], v[14:15], s[42:43], v[10:11]
	v_add_f64 v[10:11], v[21:22], v[12:13]
	v_add_f64 v[16:17], v[10:11], -v[21:22]
	v_add_f64 v[12:13], v[12:13], -v[16:17]
.LBB0_47:                               ;   in Loop: Header=BB0_34 Depth=1
	s_or_b64 exec, exec, s[6:7]
	buffer_load_dword v24, off, s[0:3], 0 offset:112 ; 4-byte Folded Reload
	buffer_load_dword v25, off, s[0:3], 0 offset:116 ; 4-byte Folded Reload
	v_mul_f64 v[16:17], v[10:11], v[10:11]
	s_mov_b32 s54, s94
	v_mul_f64 v[14:15], v[16:17], 0.5
	v_add_f64 v[20:21], -v[14:15], 1.0
	v_add_f64 v[22:23], -v[20:21], 1.0
	v_add_f64 v[14:15], v[22:23], -v[14:15]
	v_mul_f64 v[22:23], v[16:17], v[16:17]
	v_fma_f64 v[14:15], v[10:11], -v[12:13], v[14:15]
	s_waitcnt vmcnt(0)
	v_fma_f64 v[24:25], v[16:17], s[46:47], v[24:25]
	v_fma_f64 v[24:25], v[16:17], v[24:25], s[48:49]
	;; [unrolled: 1-line block ×6, first 2 shown]
	v_mul_f64 v[22:23], v[10:11], -v[16:17]
	v_mul_f64 v[24:25], v[12:13], 0.5
	v_add_f64 v[14:15], v[20:21], v[14:15]
	buffer_load_dword v20, off, s[0:3], 0 offset:120 ; 4-byte Folded Reload
	buffer_load_dword v21, off, s[0:3], 0 offset:124 ; 4-byte Folded Reload
	s_waitcnt vmcnt(0)
	v_fma_f64 v[20:21], v[16:17], s[58:59], v[20:21]
	v_fma_f64 v[20:21], v[16:17], v[20:21], s[60:61]
	;; [unrolled: 1-line block ×5, first 2 shown]
	v_fma_f64 v[12:13], v[16:17], v[20:21], -v[12:13]
	v_fma_f64 v[12:13], v[22:23], s[54:55], v[12:13]
	v_add_f64 v[10:11], v[10:11], -v[12:13]
	v_and_b32_e32 v12, 1, v19
	v_cmp_eq_u32_e32 vcc, 0, v12
	v_lshlrev_b32_e32 v12, 30, v19
	v_and_b32_e32 v12, 0x80000000, v12
	v_xor_b32_e32 v11, 0x80000000, v11
	v_cndmask_b32_e32 v10, v10, v14, vcc
	v_cndmask_b32_e32 v11, v11, v15, vcc
	v_cmp_class_f64_e64 vcc, v[0:1], s67
	v_xor_b32_e32 v11, v11, v12
                                        ; implicit-def: $vgpr14
                                        ; implicit-def: $vgpr12_vgpr13
	v_cndmask_b32_e32 v11, v61, v11, vcc
	v_cndmask_b32_e32 v10, 0, v10, vcc
	buffer_store_dword v10, off, s[0:3], 0 offset:16
	buffer_store_dword v11, off, s[0:3], 0 offset:20
                                        ; implicit-def: $vgpr10_vgpr11
	s_and_saveexec_b64 s[6:7], s[8:9]
	s_xor_b64 s[28:29], exec, s[6:7]
	s_cbranch_execz .LBB0_49
; %bb.48:                               ;   in Loop: Header=BB0_34 Depth=1
	v_cmp_ge_f64_e64 s[6:7], |v[0:1]|, s[82:83]
	v_cndmask_b32_e64 v11, v18, v9, s[6:7]
	v_cndmask_b32_e64 v10, v0, v8, s[6:7]
	v_mul_f64 v[14:15], v[6:7], v[10:11]
	v_mul_f64 v[12:13], v[4:5], v[10:11]
	v_fma_f64 v[16:17], v[6:7], v[10:11], -v[14:15]
	v_add_f64 v[18:19], v[12:13], v[16:17]
	v_add_f64 v[22:23], v[18:19], -v[12:13]
	v_add_f64 v[20:21], v[14:15], v[18:19]
	v_add_f64 v[16:17], v[16:17], -v[22:23]
	v_add_f64 v[22:23], v[18:19], -v[22:23]
	v_ldexp_f64 v[6:7], v[20:21], -2
	v_add_f64 v[22:23], v[12:13], -v[22:23]
	v_fma_f64 v[12:13], v[4:5], v[10:11], -v[12:13]
	v_add_f64 v[4:5], v[20:21], -v[14:15]
	v_fract_f64_e32 v[8:9], v[6:7]
	v_cmp_neq_f64_e64 s[6:7], |v[6:7]|, s[84:85]
	v_add_f64 v[16:17], v[16:17], v[22:23]
	v_mul_f64 v[22:23], v[2:3], v[10:11]
	v_add_f64 v[14:15], v[18:19], -v[4:5]
	v_ldexp_f64 v[8:9], v[8:9], 2
	v_add_f64 v[24:25], v[22:23], v[12:13]
	v_fma_f64 v[2:3], v[2:3], v[10:11], -v[22:23]
	v_cndmask_b32_e64 v7, 0, v9, s[6:7]
	v_cndmask_b32_e64 v6, 0, v8, s[6:7]
	v_add_f64 v[26:27], v[24:25], v[16:17]
	v_add_f64 v[4:5], v[14:15], v[26:27]
	v_add_f64 v[18:19], v[26:27], -v[24:25]
	v_add_f64 v[8:9], v[4:5], v[6:7]
	v_add_f64 v[16:17], v[16:17], -v[18:19]
	v_add_f64 v[18:19], v[26:27], -v[18:19]
	;; [unrolled: 1-line block ×3, first 2 shown]
	v_cmp_gt_f64_e64 s[6:7], 0, v[8:9]
	v_mov_b32_e32 v8, 0x40100000
	v_add_f64 v[18:19], v[24:25], -v[18:19]
	v_add_f64 v[14:15], v[26:27], -v[14:15]
	v_cndmask_b32_e64 v56, 0, v8, s[6:7]
	v_add_f64 v[6:7], v[6:7], v[55:56]
	v_add_f64 v[16:17], v[16:17], v[18:19]
	v_add_f64 v[18:19], v[24:25], -v[22:23]
	v_add_f64 v[8:9], v[4:5], v[6:7]
	v_add_f64 v[12:13], v[12:13], -v[18:19]
	v_add_f64 v[18:19], v[24:25], -v[18:19]
	v_cvt_i32_f64_e32 v10, v[8:9]
	v_add_f64 v[18:19], v[22:23], -v[18:19]
	v_cvt_f64_i32_e32 v[8:9], v10
	v_add_f64 v[6:7], v[6:7], -v[8:9]
	v_add_f64 v[12:13], v[12:13], v[18:19]
	v_add_f64 v[8:9], v[4:5], v[6:7]
	;; [unrolled: 1-line block ×3, first 2 shown]
	v_add_f64 v[6:7], v[8:9], -v[6:7]
	v_cmp_le_f64_e64 s[6:7], 0.5, v[8:9]
	v_add_f64 v[2:3], v[2:3], v[12:13]
	v_add_f64 v[4:5], v[4:5], -v[6:7]
	v_add_f64 v[2:3], v[14:15], v[2:3]
	v_addc_co_u32_e64 v14, s[8:9], 0, v10, s[6:7]
	v_add_f64 v[2:3], v[2:3], v[4:5]
	v_mov_b32_e32 v4, 0x3ff00000
	v_cndmask_b32_e64 v56, 0, v4, s[6:7]
	v_add_f64 v[4:5], v[8:9], -v[55:56]
	v_add_f64 v[6:7], v[4:5], v[2:3]
	v_add_f64 v[4:5], v[6:7], -v[4:5]
	v_add_f64 v[2:3], v[2:3], -v[4:5]
	v_mul_f64 v[4:5], v[6:7], s[86:87]
	v_fma_f64 v[8:9], v[6:7], s[86:87], -v[4:5]
	v_fma_f64 v[6:7], v[6:7], s[36:37], v[8:9]
	v_fma_f64 v[2:3], v[2:3], s[86:87], v[6:7]
	v_add_f64 v[10:11], v[4:5], v[2:3]
	v_add_f64 v[4:5], v[10:11], -v[4:5]
	v_add_f64 v[12:13], v[2:3], -v[4:5]
.LBB0_49:                               ;   in Loop: Header=BB0_34 Depth=1
	s_andn2_saveexec_b64 s[6:7], s[28:29]
	s_cbranch_execz .LBB0_51
; %bb.50:                               ;   in Loop: Header=BB0_34 Depth=1
	v_mul_f64 v[2:3], |v[0:1]|, s[38:39]
	s_mov_b32 s24, s86
	s_mov_b32 s8, s40
	;; [unrolled: 1-line block ×3, first 2 shown]
	v_rndne_f64_e32 v[2:3], v[2:3]
	v_fma_f64 v[4:5], v[2:3], s[24:25], |v[0:1]|
	v_mul_f64 v[6:7], v[2:3], s[40:41]
	v_cvt_i32_f64_e32 v14, v[2:3]
	v_add_f64 v[8:9], v[4:5], v[6:7]
	v_add_f64 v[10:11], v[4:5], -v[8:9]
	v_fma_f64 v[4:5], v[2:3], s[40:41], v[4:5]
	v_add_f64 v[10:11], v[10:11], v[6:7]
	v_add_f64 v[8:9], v[8:9], -v[4:5]
	v_fma_f64 v[6:7], v[2:3], s[8:9], v[6:7]
	;; [unrolled: 3-line block ×3, first 2 shown]
	v_add_f64 v[10:11], v[4:5], v[6:7]
	v_add_f64 v[4:5], v[10:11], -v[4:5]
	v_add_f64 v[12:13], v[6:7], -v[4:5]
.LBB0_51:                               ;   in Loop: Header=BB0_34 Depth=1
	s_or_b64 exec, exec, s[6:7]
	buffer_load_dword v15, off, s[0:3], 0 offset:112 ; 4-byte Folded Reload
	buffer_load_dword v16, off, s[0:3], 0 offset:116 ; 4-byte Folded Reload
	v_mul_f64 v[2:3], v[10:11], v[10:11]
	s_mov_b32 s54, s94
	v_and_b32_e32 v0, 1, v14
	v_cmp_eq_u32_e64 s[6:7], 0, v0
                                        ; implicit-def: $vgpr19
	v_mul_f64 v[4:5], v[2:3], 0.5
	v_add_f64 v[6:7], -v[4:5], 1.0
	v_add_f64 v[8:9], -v[6:7], 1.0
	v_add_f64 v[4:5], v[8:9], -v[4:5]
	v_mul_f64 v[8:9], v[2:3], v[2:3]
	v_fma_f64 v[4:5], v[10:11], -v[12:13], v[4:5]
	s_waitcnt vmcnt(0)
	v_fma_f64 v[15:16], v[2:3], s[46:47], v[15:16]
	v_fma_f64 v[15:16], v[2:3], v[15:16], s[48:49]
	;; [unrolled: 1-line block ×6, first 2 shown]
	v_mul_f64 v[8:9], v[10:11], -v[2:3]
	v_mul_f64 v[15:16], v[12:13], 0.5
	v_add_f64 v[4:5], v[6:7], v[4:5]
	buffer_load_dword v6, off, s[0:3], 0 offset:120 ; 4-byte Folded Reload
	buffer_load_dword v7, off, s[0:3], 0 offset:124 ; 4-byte Folded Reload
	s_waitcnt vmcnt(0)
	v_fma_f64 v[6:7], v[2:3], s[58:59], v[6:7]
	v_fma_f64 v[6:7], v[2:3], v[6:7], s[60:61]
	;; [unrolled: 1-line block ×5, first 2 shown]
	v_fma_f64 v[2:3], v[2:3], v[6:7], -v[12:13]
	v_fma_f64 v[2:3], v[8:9], s[54:55], v[2:3]
	v_add_f64 v[2:3], v[10:11], -v[2:3]
	v_cndmask_b32_e64 v0, v4, v2, s[6:7]
	v_cndmask_b32_e64 v2, v5, v3, s[6:7]
	v_lshlrev_b32_e32 v3, 30, v14
	v_xor_b32_e32 v1, v3, v1
	v_and_b32_e32 v1, 0x80000000, v1
	v_xor_b32_e32 v1, v2, v1
	v_cndmask_b32_e32 v0, 0, v0, vcc
	v_mov_b32_e32 v2, 0xfff80000
	v_cndmask_b32_e64 v1, v2, -v1, vcc
	buffer_store_dword v0, off, s[0:3], 0 offset:24
	buffer_store_dword v1, off, s[0:3], 0 offset:28
	global_load_dwordx2 v[0:1], v[46:47], off offset:16
	s_mov_b32 s6, 0
	s_mov_b32 s7, 0x40080000
	s_waitcnt vmcnt(0)
	v_mul_f64 v[2:3], v[29:30], v[0:1]
	v_mul_f64 v[4:5], v[2:3], s[6:7]
	v_fma_f64 v[2:3], -v[2:3], v[2:3], s[6:7]
	v_div_scale_f64 v[6:7], s[6:7], v[2:3], v[2:3], v[4:5]
	v_rcp_f64_e32 v[8:9], v[6:7]
	v_fma_f64 v[10:11], -v[6:7], v[8:9], 1.0
	v_fma_f64 v[8:9], v[8:9], v[10:11], v[8:9]
	v_fma_f64 v[10:11], -v[6:7], v[8:9], 1.0
	v_fma_f64 v[8:9], v[8:9], v[10:11], v[8:9]
	v_div_scale_f64 v[10:11], vcc, v[4:5], v[2:3], v[4:5]
	v_mul_f64 v[12:13], v[10:11], v[8:9]
	v_fma_f64 v[6:7], -v[6:7], v[12:13], v[10:11]
	s_nop 1
	v_div_fmas_f64 v[6:7], v[6:7], v[8:9], v[12:13]
	v_div_fixup_f64 v[2:3], v[6:7], v[2:3], v[4:5]
	v_and_b32_e32 v5, 0x7fffffff, v3
	v_mov_b32_e32 v4, v2
	v_div_scale_f64 v[6:7], s[8:9], v[4:5], v[4:5], 1.0
	v_cmp_gt_f64_e64 s[6:7], |v[2:3]|, 1.0
	s_mov_b32 s8, 0xb5e68a13
	s_mov_b32 s9, 0x3eeba404
	v_rcp_f64_e32 v[8:9], v[6:7]
	v_fma_f64 v[10:11], -v[6:7], v[8:9], 1.0
	v_fma_f64 v[8:9], v[8:9], v[10:11], v[8:9]
	v_fma_f64 v[10:11], -v[6:7], v[8:9], 1.0
	v_fma_f64 v[8:9], v[8:9], v[10:11], v[8:9]
	v_div_scale_f64 v[10:11], vcc, 1.0, v[4:5], 1.0
	v_mul_f64 v[12:13], v[10:11], v[8:9]
	v_fma_f64 v[6:7], -v[6:7], v[12:13], v[10:11]
                                        ; implicit-def: $vgpr10_vgpr11
	s_nop 1
	v_div_fmas_f64 v[6:7], v[6:7], v[8:9], v[12:13]
	buffer_load_dword v8, off, s[0:3], 0 offset:172 ; 4-byte Folded Reload
	buffer_load_dword v9, off, s[0:3], 0 offset:176 ; 4-byte Folded Reload
                                        ; implicit-def: $vgpr12_vgpr13
	v_div_fixup_f64 v[6:7], v[6:7], |v[2:3]|, 1.0
	v_cndmask_b32_e64 v5, v5, v7, s[6:7]
	v_cndmask_b32_e64 v4, v2, v6, s[6:7]
	v_mul_f64 v[6:7], v[4:5], v[4:5]
	s_waitcnt vmcnt(0)
	v_fma_f64 v[8:9], v[6:7], s[8:9], v[8:9]
	s_mov_b32 s8, 0x69efb384
	s_mov_b32 s9, 0x3f4b2bb0
	v_fma_f64 v[8:9], v[6:7], v[8:9], s[8:9]
	s_mov_b32 s8, 0xaf56de9b
	s_mov_b32 s9, 0xbf67952d
	;; [unrolled: 3-line block ×19, first 2 shown]
	v_mul_f64 v[6:7], v[6:7], v[8:9]
	v_fma_f64 v[4:5], v[4:5], v[6:7], v[4:5]
	buffer_load_dword v6, off, s[0:3], 0 offset:180 ; 4-byte Folded Reload
	buffer_load_dword v7, off, s[0:3], 0 offset:184 ; 4-byte Folded Reload
	s_waitcnt vmcnt(0)
	v_fma_f64 v[6:7], s[8:9], v[6:7], -v[4:5]
	v_cndmask_b32_e64 v2, v4, v6, s[6:7]
	v_cndmask_b32_e64 v4, v5, v7, s[6:7]
	s_brev_b32 s6, -2
	v_bfi_b32 v3, s6, v4, v3
	v_fma_f64 v[0:1], v[29:30], v[0:1], -v[2:3]
	v_add_f64 v[0:1], v[0:1], v[0:1]
	v_trig_preop_f64 v[6:7], |v[0:1]|, 0
	v_trig_preop_f64 v[4:5], |v[0:1]|, 1
	;; [unrolled: 1-line block ×3, first 2 shown]
	v_cmp_nlt_f64_e64 s[8:9], |v[0:1]|, s[80:81]
	v_ldexp_f64 v[8:9], |v[0:1]|, s13
	v_and_b32_e32 v18, 0x7fffffff, v1
	s_and_saveexec_b64 s[6:7], s[8:9]
	s_xor_b64 s[28:29], exec, s[6:7]
	s_cbranch_execz .LBB0_53
; %bb.52:                               ;   in Loop: Header=BB0_34 Depth=1
	v_cmp_ge_f64_e64 vcc, |v[0:1]|, s[82:83]
	v_cndmask_b32_e32 v15, v18, v9, vcc
	v_cndmask_b32_e32 v14, v0, v8, vcc
	v_mul_f64 v[19:20], v[6:7], v[14:15]
	v_mul_f64 v[10:11], v[4:5], v[14:15]
	;; [unrolled: 1-line block ×3, first 2 shown]
	v_fma_f64 v[21:22], v[6:7], v[14:15], -v[19:20]
	v_add_f64 v[23:24], v[10:11], v[21:22]
	v_add_f64 v[27:28], v[23:24], -v[10:11]
	v_add_f64 v[25:26], v[19:20], v[23:24]
	v_add_f64 v[21:22], v[21:22], -v[27:28]
	v_add_f64 v[27:28], v[23:24], -v[27:28]
	v_ldexp_f64 v[12:13], v[25:26], -2
	v_add_f64 v[27:28], v[10:11], -v[27:28]
	v_fract_f64_e32 v[16:17], v[12:13]
	v_cmp_neq_f64_e64 vcc, |v[12:13]|, s[84:85]
	v_add_f64 v[21:22], v[21:22], v[27:28]
	v_fma_f64 v[27:28], v[4:5], v[14:15], -v[10:11]
	v_add_f64 v[10:11], v[25:26], -v[19:20]
	v_ldexp_f64 v[16:17], v[16:17], 2
	v_fma_f64 v[14:15], v[2:3], v[14:15], -v[29:30]
	v_add_f64 v[31:32], v[29:30], v[27:28]
	v_add_f64 v[19:20], v[23:24], -v[10:11]
	v_cndmask_b32_e32 v13, 0, v17, vcc
	v_cndmask_b32_e32 v12, 0, v16, vcc
	v_add_f64 v[33:34], v[31:32], v[21:22]
	v_add_f64 v[23:24], v[33:34], -v[31:32]
	v_add_f64 v[10:11], v[19:20], v[33:34]
	v_add_f64 v[21:22], v[21:22], -v[23:24]
	v_add_f64 v[23:24], v[33:34], -v[23:24]
	v_add_f64 v[16:17], v[10:11], v[12:13]
	v_add_f64 v[19:20], v[10:11], -v[19:20]
	v_add_f64 v[23:24], v[31:32], -v[23:24]
	v_cmp_gt_f64_e32 vcc, 0, v[16:17]
	v_mov_b32_e32 v16, 0x40100000
	v_add_f64 v[19:20], v[33:34], -v[19:20]
	v_add_f64 v[21:22], v[21:22], v[23:24]
	v_add_f64 v[23:24], v[31:32], -v[29:30]
	v_cndmask_b32_e32 v56, 0, v16, vcc
	v_add_f64 v[12:13], v[12:13], v[55:56]
	v_add_f64 v[25:26], v[27:28], -v[23:24]
	v_add_f64 v[23:24], v[31:32], -v[23:24]
	v_add_f64 v[16:17], v[10:11], v[12:13]
	v_add_f64 v[23:24], v[29:30], -v[23:24]
	buffer_load_dword v29, off, s[0:3], 0 offset:72 ; 4-byte Folded Reload
	buffer_load_dword v30, off, s[0:3], 0 offset:76 ; 4-byte Folded Reload
	v_add_f64 v[23:24], v[25:26], v[23:24]
	v_add_f64 v[21:22], v[23:24], v[21:22]
	;; [unrolled: 1-line block ×4, first 2 shown]
	v_cvt_i32_f64_e32 v19, v[16:17]
	v_cvt_f64_i32_e32 v[16:17], v19
	v_add_f64 v[12:13], v[12:13], -v[16:17]
	v_add_f64 v[16:17], v[10:11], v[12:13]
	v_add_f64 v[12:13], v[16:17], -v[12:13]
	v_cmp_le_f64_e32 vcc, 0.5, v[16:17]
	v_add_f64 v[10:11], v[10:11], -v[12:13]
	v_mov_b32_e32 v12, 0x3ff00000
	v_cndmask_b32_e32 v56, 0, v12, vcc
	v_add_f64 v[12:13], v[16:17], -v[55:56]
	v_addc_co_u32_e64 v19, s[6:7], 0, v19, vcc
	v_add_f64 v[10:11], v[14:15], v[10:11]
	v_add_f64 v[14:15], v[12:13], v[10:11]
	v_add_f64 v[12:13], v[14:15], -v[12:13]
	v_add_f64 v[10:11], v[10:11], -v[12:13]
	v_mul_f64 v[12:13], v[14:15], s[86:87]
	v_fma_f64 v[16:17], v[14:15], s[86:87], -v[12:13]
	v_fma_f64 v[14:15], v[14:15], s[36:37], v[16:17]
	v_fma_f64 v[14:15], v[10:11], s[86:87], v[14:15]
	v_add_f64 v[10:11], v[12:13], v[14:15]
	v_add_f64 v[12:13], v[10:11], -v[12:13]
	v_add_f64 v[12:13], v[14:15], -v[12:13]
.LBB0_53:                               ;   in Loop: Header=BB0_34 Depth=1
	s_andn2_saveexec_b64 s[6:7], s[28:29]
	s_cbranch_execz .LBB0_55
; %bb.54:                               ;   in Loop: Header=BB0_34 Depth=1
	v_mul_f64 v[10:11], |v[0:1]|, s[38:39]
	s_mov_b32 s24, s86
	s_mov_b32 s28, s40
	;; [unrolled: 1-line block ×3, first 2 shown]
	v_rndne_f64_e32 v[14:15], v[10:11]
	v_fma_f64 v[10:11], v[14:15], s[24:25], |v[0:1]|
	v_mul_f64 v[12:13], v[14:15], s[40:41]
	v_fma_f64 v[21:22], v[14:15], s[40:41], v[10:11]
	v_add_f64 v[16:17], v[10:11], v[12:13]
	v_add_f64 v[19:20], v[10:11], -v[16:17]
	v_add_f64 v[16:17], v[16:17], -v[21:22]
	v_add_f64 v[10:11], v[19:20], v[12:13]
	v_fma_f64 v[12:13], v[14:15], s[28:29], v[12:13]
	v_cvt_i32_f64_e32 v19, v[14:15]
	v_add_f64 v[10:11], v[16:17], v[10:11]
	v_add_f64 v[10:11], v[10:11], -v[12:13]
	v_fma_f64 v[12:13], v[14:15], s[42:43], v[10:11]
	v_add_f64 v[10:11], v[21:22], v[12:13]
	v_add_f64 v[16:17], v[10:11], -v[21:22]
	v_add_f64 v[12:13], v[12:13], -v[16:17]
.LBB0_55:                               ;   in Loop: Header=BB0_34 Depth=1
	s_or_b64 exec, exec, s[6:7]
	buffer_load_dword v24, off, s[0:3], 0 offset:112 ; 4-byte Folded Reload
	buffer_load_dword v25, off, s[0:3], 0 offset:116 ; 4-byte Folded Reload
	v_mul_f64 v[16:17], v[10:11], v[10:11]
	s_mov_b32 s54, s94
	v_mul_f64 v[14:15], v[16:17], 0.5
	v_add_f64 v[20:21], -v[14:15], 1.0
	v_add_f64 v[22:23], -v[20:21], 1.0
	v_add_f64 v[14:15], v[22:23], -v[14:15]
	v_mul_f64 v[22:23], v[16:17], v[16:17]
	v_fma_f64 v[14:15], v[10:11], -v[12:13], v[14:15]
	s_waitcnt vmcnt(0)
	v_fma_f64 v[24:25], v[16:17], s[46:47], v[24:25]
	v_fma_f64 v[24:25], v[16:17], v[24:25], s[48:49]
	;; [unrolled: 1-line block ×6, first 2 shown]
	v_mul_f64 v[22:23], v[10:11], -v[16:17]
	v_mul_f64 v[24:25], v[12:13], 0.5
	v_add_f64 v[14:15], v[20:21], v[14:15]
	buffer_load_dword v20, off, s[0:3], 0 offset:120 ; 4-byte Folded Reload
	buffer_load_dword v21, off, s[0:3], 0 offset:124 ; 4-byte Folded Reload
	s_waitcnt vmcnt(0)
	v_fma_f64 v[20:21], v[16:17], s[58:59], v[20:21]
	v_fma_f64 v[20:21], v[16:17], v[20:21], s[60:61]
	;; [unrolled: 1-line block ×5, first 2 shown]
	v_fma_f64 v[12:13], v[16:17], v[20:21], -v[12:13]
	v_fma_f64 v[12:13], v[22:23], s[54:55], v[12:13]
	v_add_f64 v[10:11], v[10:11], -v[12:13]
	v_and_b32_e32 v12, 1, v19
	v_cmp_eq_u32_e32 vcc, 0, v12
	v_lshlrev_b32_e32 v12, 30, v19
	v_and_b32_e32 v12, 0x80000000, v12
	v_xor_b32_e32 v11, 0x80000000, v11
	v_cndmask_b32_e32 v10, v10, v14, vcc
	v_cndmask_b32_e32 v11, v11, v15, vcc
	v_cmp_class_f64_e64 vcc, v[0:1], s67
	v_xor_b32_e32 v11, v11, v12
                                        ; implicit-def: $vgpr14
                                        ; implicit-def: $vgpr12_vgpr13
	v_cndmask_b32_e32 v11, v61, v11, vcc
	v_cndmask_b32_e32 v10, 0, v10, vcc
	buffer_store_dword v10, off, s[0:3], 0 offset:32
	buffer_store_dword v11, off, s[0:3], 0 offset:36
                                        ; implicit-def: $vgpr10_vgpr11
	s_and_saveexec_b64 s[6:7], s[8:9]
	s_xor_b64 s[28:29], exec, s[6:7]
	s_cbranch_execz .LBB0_57
; %bb.56:                               ;   in Loop: Header=BB0_34 Depth=1
	v_cmp_ge_f64_e64 s[6:7], |v[0:1]|, s[82:83]
	v_cndmask_b32_e64 v11, v18, v9, s[6:7]
	v_cndmask_b32_e64 v10, v0, v8, s[6:7]
	v_mul_f64 v[14:15], v[6:7], v[10:11]
	v_mul_f64 v[12:13], v[4:5], v[10:11]
	v_fma_f64 v[16:17], v[6:7], v[10:11], -v[14:15]
	v_add_f64 v[18:19], v[12:13], v[16:17]
	v_add_f64 v[22:23], v[18:19], -v[12:13]
	v_add_f64 v[20:21], v[14:15], v[18:19]
	v_add_f64 v[16:17], v[16:17], -v[22:23]
	v_add_f64 v[22:23], v[18:19], -v[22:23]
	v_ldexp_f64 v[6:7], v[20:21], -2
	v_add_f64 v[22:23], v[12:13], -v[22:23]
	v_fma_f64 v[12:13], v[4:5], v[10:11], -v[12:13]
	v_add_f64 v[4:5], v[20:21], -v[14:15]
	v_fract_f64_e32 v[8:9], v[6:7]
	v_cmp_neq_f64_e64 s[6:7], |v[6:7]|, s[84:85]
	v_add_f64 v[16:17], v[16:17], v[22:23]
	v_mul_f64 v[22:23], v[2:3], v[10:11]
	v_add_f64 v[14:15], v[18:19], -v[4:5]
	v_ldexp_f64 v[8:9], v[8:9], 2
	v_add_f64 v[24:25], v[22:23], v[12:13]
	v_fma_f64 v[2:3], v[2:3], v[10:11], -v[22:23]
	v_cndmask_b32_e64 v7, 0, v9, s[6:7]
	v_cndmask_b32_e64 v6, 0, v8, s[6:7]
	v_add_f64 v[26:27], v[24:25], v[16:17]
	v_add_f64 v[4:5], v[14:15], v[26:27]
	v_add_f64 v[18:19], v[26:27], -v[24:25]
	v_add_f64 v[8:9], v[4:5], v[6:7]
	v_add_f64 v[16:17], v[16:17], -v[18:19]
	v_add_f64 v[18:19], v[26:27], -v[18:19]
	;; [unrolled: 1-line block ×3, first 2 shown]
	v_cmp_gt_f64_e64 s[6:7], 0, v[8:9]
	v_mov_b32_e32 v8, 0x40100000
	v_add_f64 v[18:19], v[24:25], -v[18:19]
	v_add_f64 v[14:15], v[26:27], -v[14:15]
	v_cndmask_b32_e64 v56, 0, v8, s[6:7]
	v_add_f64 v[6:7], v[6:7], v[55:56]
	v_add_f64 v[16:17], v[16:17], v[18:19]
	v_add_f64 v[18:19], v[24:25], -v[22:23]
	v_add_f64 v[8:9], v[4:5], v[6:7]
	v_add_f64 v[12:13], v[12:13], -v[18:19]
	v_add_f64 v[18:19], v[24:25], -v[18:19]
	v_cvt_i32_f64_e32 v10, v[8:9]
	v_add_f64 v[18:19], v[22:23], -v[18:19]
	v_cvt_f64_i32_e32 v[8:9], v10
	v_add_f64 v[6:7], v[6:7], -v[8:9]
	v_add_f64 v[12:13], v[12:13], v[18:19]
	v_add_f64 v[8:9], v[4:5], v[6:7]
	;; [unrolled: 1-line block ×3, first 2 shown]
	v_add_f64 v[6:7], v[8:9], -v[6:7]
	v_cmp_le_f64_e64 s[6:7], 0.5, v[8:9]
	v_add_f64 v[2:3], v[2:3], v[12:13]
	v_add_f64 v[4:5], v[4:5], -v[6:7]
	v_add_f64 v[2:3], v[14:15], v[2:3]
	v_addc_co_u32_e64 v14, s[8:9], 0, v10, s[6:7]
	v_add_f64 v[2:3], v[2:3], v[4:5]
	v_mov_b32_e32 v4, 0x3ff00000
	v_cndmask_b32_e64 v56, 0, v4, s[6:7]
	v_add_f64 v[4:5], v[8:9], -v[55:56]
	v_add_f64 v[6:7], v[4:5], v[2:3]
	v_add_f64 v[4:5], v[6:7], -v[4:5]
	v_add_f64 v[2:3], v[2:3], -v[4:5]
	v_mul_f64 v[4:5], v[6:7], s[86:87]
	v_fma_f64 v[8:9], v[6:7], s[86:87], -v[4:5]
	v_fma_f64 v[6:7], v[6:7], s[36:37], v[8:9]
	v_fma_f64 v[2:3], v[2:3], s[86:87], v[6:7]
	v_add_f64 v[10:11], v[4:5], v[2:3]
	v_add_f64 v[4:5], v[10:11], -v[4:5]
	v_add_f64 v[12:13], v[2:3], -v[4:5]
.LBB0_57:                               ;   in Loop: Header=BB0_34 Depth=1
	s_andn2_saveexec_b64 s[6:7], s[28:29]
	s_cbranch_execz .LBB0_59
; %bb.58:                               ;   in Loop: Header=BB0_34 Depth=1
	v_mul_f64 v[2:3], |v[0:1]|, s[38:39]
	s_mov_b32 s24, s86
	s_mov_b32 s8, s40
	;; [unrolled: 1-line block ×3, first 2 shown]
	v_rndne_f64_e32 v[2:3], v[2:3]
	v_fma_f64 v[4:5], v[2:3], s[24:25], |v[0:1]|
	v_mul_f64 v[6:7], v[2:3], s[40:41]
	v_cvt_i32_f64_e32 v14, v[2:3]
	v_add_f64 v[8:9], v[4:5], v[6:7]
	v_add_f64 v[10:11], v[4:5], -v[8:9]
	v_fma_f64 v[4:5], v[2:3], s[40:41], v[4:5]
	v_add_f64 v[10:11], v[10:11], v[6:7]
	v_add_f64 v[8:9], v[8:9], -v[4:5]
	v_fma_f64 v[6:7], v[2:3], s[8:9], v[6:7]
	;; [unrolled: 3-line block ×3, first 2 shown]
	v_add_f64 v[10:11], v[4:5], v[6:7]
	v_add_f64 v[4:5], v[10:11], -v[4:5]
	v_add_f64 v[12:13], v[6:7], -v[4:5]
.LBB0_59:                               ;   in Loop: Header=BB0_34 Depth=1
	s_or_b64 exec, exec, s[6:7]
	buffer_load_dword v15, off, s[0:3], 0 offset:112 ; 4-byte Folded Reload
	buffer_load_dword v16, off, s[0:3], 0 offset:116 ; 4-byte Folded Reload
	v_mul_f64 v[2:3], v[10:11], v[10:11]
	s_mov_b32 s54, s94
	v_and_b32_e32 v0, 1, v14
	v_cmp_eq_u32_e64 s[6:7], 0, v0
	s_mov_b32 s8, 0
	s_mov_b32 s9, 0xc0180000
                                        ; implicit-def: $vgpr19
	v_mul_f64 v[4:5], v[2:3], 0.5
	v_add_f64 v[6:7], -v[4:5], 1.0
	v_add_f64 v[8:9], -v[6:7], 1.0
	v_add_f64 v[4:5], v[8:9], -v[4:5]
	v_mul_f64 v[8:9], v[2:3], v[2:3]
	v_fma_f64 v[4:5], v[10:11], -v[12:13], v[4:5]
	s_waitcnt vmcnt(0)
	v_fma_f64 v[15:16], v[2:3], s[46:47], v[15:16]
	v_fma_f64 v[15:16], v[2:3], v[15:16], s[48:49]
	;; [unrolled: 1-line block ×6, first 2 shown]
	v_mul_f64 v[8:9], v[10:11], -v[2:3]
	v_mul_f64 v[15:16], v[12:13], 0.5
	v_add_f64 v[4:5], v[6:7], v[4:5]
	buffer_load_dword v6, off, s[0:3], 0 offset:120 ; 4-byte Folded Reload
	buffer_load_dword v7, off, s[0:3], 0 offset:124 ; 4-byte Folded Reload
	s_waitcnt vmcnt(0)
	v_fma_f64 v[6:7], v[2:3], s[58:59], v[6:7]
	v_fma_f64 v[6:7], v[2:3], v[6:7], s[60:61]
	;; [unrolled: 1-line block ×5, first 2 shown]
	v_fma_f64 v[2:3], v[2:3], v[6:7], -v[12:13]
	v_fma_f64 v[2:3], v[8:9], s[54:55], v[2:3]
	v_add_f64 v[2:3], v[10:11], -v[2:3]
	v_cndmask_b32_e64 v0, v4, v2, s[6:7]
	v_cndmask_b32_e64 v2, v5, v3, s[6:7]
	v_lshlrev_b32_e32 v3, 30, v14
	v_xor_b32_e32 v1, v3, v1
	v_and_b32_e32 v1, 0x80000000, v1
	v_xor_b32_e32 v1, v2, v1
	v_cndmask_b32_e32 v0, 0, v0, vcc
	v_mov_b32_e32 v2, 0xfff80000
	v_cndmask_b32_e64 v1, v2, -v1, vcc
	buffer_store_dword v0, off, s[0:3], 0 offset:40
	buffer_store_dword v1, off, s[0:3], 0 offset:44
	global_load_dwordx2 v[0:1], v[46:47], off offset:24
	s_mov_b32 s6, 0
	s_mov_b32 s7, 0x402e0000
	s_waitcnt vmcnt(0)
	v_mul_f64 v[2:3], v[29:30], v[0:1]
	v_fma_f64 v[4:5], -v[2:3], v[2:3], s[6:7]
	v_mul_f64 v[6:7], v[2:3], s[8:9]
	v_mul_f64 v[4:5], v[2:3], v[4:5]
	v_fma_f64 v[2:3], v[2:3], v[6:7], s[6:7]
	v_div_scale_f64 v[6:7], s[6:7], v[2:3], v[2:3], v[4:5]
	v_rcp_f64_e32 v[8:9], v[6:7]
	v_fma_f64 v[10:11], -v[6:7], v[8:9], 1.0
	v_fma_f64 v[8:9], v[8:9], v[10:11], v[8:9]
	v_fma_f64 v[10:11], -v[6:7], v[8:9], 1.0
	v_fma_f64 v[8:9], v[8:9], v[10:11], v[8:9]
	v_div_scale_f64 v[10:11], vcc, v[4:5], v[2:3], v[4:5]
	v_mul_f64 v[12:13], v[10:11], v[8:9]
	v_fma_f64 v[6:7], -v[6:7], v[12:13], v[10:11]
	s_nop 1
	v_div_fmas_f64 v[6:7], v[6:7], v[8:9], v[12:13]
	v_div_fixup_f64 v[2:3], v[6:7], v[2:3], v[4:5]
	v_and_b32_e32 v5, 0x7fffffff, v3
	v_mov_b32_e32 v4, v2
	v_div_scale_f64 v[6:7], s[8:9], v[4:5], v[4:5], 1.0
	v_cmp_gt_f64_e64 s[6:7], |v[2:3]|, 1.0
	s_mov_b32 s8, 0xb5e68a13
	s_mov_b32 s9, 0x3eeba404
	v_rcp_f64_e32 v[8:9], v[6:7]
	v_fma_f64 v[10:11], -v[6:7], v[8:9], 1.0
	v_fma_f64 v[8:9], v[8:9], v[10:11], v[8:9]
	v_fma_f64 v[10:11], -v[6:7], v[8:9], 1.0
	v_fma_f64 v[8:9], v[8:9], v[10:11], v[8:9]
	v_div_scale_f64 v[10:11], vcc, 1.0, v[4:5], 1.0
	v_mul_f64 v[12:13], v[10:11], v[8:9]
	v_fma_f64 v[6:7], -v[6:7], v[12:13], v[10:11]
                                        ; implicit-def: $vgpr10_vgpr11
	s_nop 1
	v_div_fmas_f64 v[6:7], v[6:7], v[8:9], v[12:13]
	buffer_load_dword v8, off, s[0:3], 0 offset:172 ; 4-byte Folded Reload
	buffer_load_dword v9, off, s[0:3], 0 offset:176 ; 4-byte Folded Reload
                                        ; implicit-def: $vgpr12_vgpr13
	v_div_fixup_f64 v[6:7], v[6:7], |v[2:3]|, 1.0
	v_cndmask_b32_e64 v5, v5, v7, s[6:7]
	v_cndmask_b32_e64 v4, v2, v6, s[6:7]
	v_mul_f64 v[6:7], v[4:5], v[4:5]
	s_waitcnt vmcnt(0)
	v_fma_f64 v[8:9], v[6:7], s[8:9], v[8:9]
	s_mov_b32 s8, 0x69efb384
	s_mov_b32 s9, 0x3f4b2bb0
	v_fma_f64 v[8:9], v[6:7], v[8:9], s[8:9]
	s_mov_b32 s8, 0xaf56de9b
	s_mov_b32 s9, 0xbf67952d
	;; [unrolled: 3-line block ×19, first 2 shown]
	v_mul_f64 v[6:7], v[6:7], v[8:9]
	v_fma_f64 v[4:5], v[4:5], v[6:7], v[4:5]
	buffer_load_dword v6, off, s[0:3], 0 offset:180 ; 4-byte Folded Reload
	buffer_load_dword v7, off, s[0:3], 0 offset:184 ; 4-byte Folded Reload
	s_waitcnt vmcnt(0)
	v_fma_f64 v[6:7], s[8:9], v[6:7], -v[4:5]
	v_cndmask_b32_e64 v2, v4, v6, s[6:7]
	v_cndmask_b32_e64 v4, v5, v7, s[6:7]
	s_brev_b32 s6, -2
	v_bfi_b32 v3, s6, v4, v3
	v_fma_f64 v[0:1], v[29:30], v[0:1], -v[2:3]
	v_add_f64 v[0:1], v[0:1], v[0:1]
	v_trig_preop_f64 v[6:7], |v[0:1]|, 0
	v_trig_preop_f64 v[4:5], |v[0:1]|, 1
	v_trig_preop_f64 v[2:3], |v[0:1]|, 2
	v_cmp_nlt_f64_e64 s[8:9], |v[0:1]|, s[80:81]
	v_ldexp_f64 v[8:9], |v[0:1]|, s13
	v_and_b32_e32 v18, 0x7fffffff, v1
	s_and_saveexec_b64 s[6:7], s[8:9]
	s_xor_b64 s[28:29], exec, s[6:7]
	s_cbranch_execz .LBB0_61
; %bb.60:                               ;   in Loop: Header=BB0_34 Depth=1
	v_cmp_ge_f64_e64 vcc, |v[0:1]|, s[82:83]
	v_cndmask_b32_e32 v15, v18, v9, vcc
	v_cndmask_b32_e32 v14, v0, v8, vcc
	v_mul_f64 v[19:20], v[6:7], v[14:15]
	v_mul_f64 v[10:11], v[4:5], v[14:15]
	;; [unrolled: 1-line block ×3, first 2 shown]
	v_fma_f64 v[21:22], v[6:7], v[14:15], -v[19:20]
	v_add_f64 v[23:24], v[10:11], v[21:22]
	v_add_f64 v[27:28], v[23:24], -v[10:11]
	v_add_f64 v[25:26], v[19:20], v[23:24]
	v_add_f64 v[21:22], v[21:22], -v[27:28]
	v_add_f64 v[27:28], v[23:24], -v[27:28]
	v_ldexp_f64 v[12:13], v[25:26], -2
	v_add_f64 v[27:28], v[10:11], -v[27:28]
	v_fract_f64_e32 v[16:17], v[12:13]
	v_cmp_neq_f64_e64 vcc, |v[12:13]|, s[84:85]
	v_add_f64 v[21:22], v[21:22], v[27:28]
	v_fma_f64 v[27:28], v[4:5], v[14:15], -v[10:11]
	v_add_f64 v[10:11], v[25:26], -v[19:20]
	v_ldexp_f64 v[16:17], v[16:17], 2
	v_fma_f64 v[14:15], v[2:3], v[14:15], -v[29:30]
	v_add_f64 v[31:32], v[29:30], v[27:28]
	v_add_f64 v[19:20], v[23:24], -v[10:11]
	v_cndmask_b32_e32 v13, 0, v17, vcc
	v_cndmask_b32_e32 v12, 0, v16, vcc
	v_add_f64 v[33:34], v[31:32], v[21:22]
	v_add_f64 v[23:24], v[33:34], -v[31:32]
	v_add_f64 v[10:11], v[19:20], v[33:34]
	v_add_f64 v[21:22], v[21:22], -v[23:24]
	v_add_f64 v[23:24], v[33:34], -v[23:24]
	v_add_f64 v[16:17], v[10:11], v[12:13]
	v_add_f64 v[19:20], v[10:11], -v[19:20]
	v_add_f64 v[23:24], v[31:32], -v[23:24]
	v_cmp_gt_f64_e32 vcc, 0, v[16:17]
	v_mov_b32_e32 v16, 0x40100000
	v_add_f64 v[19:20], v[33:34], -v[19:20]
	v_add_f64 v[21:22], v[21:22], v[23:24]
	v_add_f64 v[23:24], v[31:32], -v[29:30]
	v_cndmask_b32_e32 v56, 0, v16, vcc
	v_add_f64 v[12:13], v[12:13], v[55:56]
	v_add_f64 v[25:26], v[27:28], -v[23:24]
	v_add_f64 v[23:24], v[31:32], -v[23:24]
	v_add_f64 v[16:17], v[10:11], v[12:13]
	v_add_f64 v[23:24], v[29:30], -v[23:24]
	buffer_load_dword v29, off, s[0:3], 0 offset:72 ; 4-byte Folded Reload
	buffer_load_dword v30, off, s[0:3], 0 offset:76 ; 4-byte Folded Reload
	v_add_f64 v[23:24], v[25:26], v[23:24]
	v_add_f64 v[21:22], v[23:24], v[21:22]
	;; [unrolled: 1-line block ×4, first 2 shown]
	v_cvt_i32_f64_e32 v19, v[16:17]
	v_cvt_f64_i32_e32 v[16:17], v19
	v_add_f64 v[12:13], v[12:13], -v[16:17]
	v_add_f64 v[16:17], v[10:11], v[12:13]
	v_add_f64 v[12:13], v[16:17], -v[12:13]
	v_cmp_le_f64_e32 vcc, 0.5, v[16:17]
	v_add_f64 v[10:11], v[10:11], -v[12:13]
	v_mov_b32_e32 v12, 0x3ff00000
	v_cndmask_b32_e32 v56, 0, v12, vcc
	v_add_f64 v[12:13], v[16:17], -v[55:56]
	v_addc_co_u32_e64 v19, s[6:7], 0, v19, vcc
	v_add_f64 v[10:11], v[14:15], v[10:11]
	v_add_f64 v[14:15], v[12:13], v[10:11]
	v_add_f64 v[12:13], v[14:15], -v[12:13]
	v_add_f64 v[10:11], v[10:11], -v[12:13]
	v_mul_f64 v[12:13], v[14:15], s[86:87]
	v_fma_f64 v[16:17], v[14:15], s[86:87], -v[12:13]
	v_fma_f64 v[14:15], v[14:15], s[36:37], v[16:17]
	v_fma_f64 v[14:15], v[10:11], s[86:87], v[14:15]
	v_add_f64 v[10:11], v[12:13], v[14:15]
	v_add_f64 v[12:13], v[10:11], -v[12:13]
	v_add_f64 v[12:13], v[14:15], -v[12:13]
.LBB0_61:                               ;   in Loop: Header=BB0_34 Depth=1
	s_andn2_saveexec_b64 s[6:7], s[28:29]
	s_cbranch_execz .LBB0_63
; %bb.62:                               ;   in Loop: Header=BB0_34 Depth=1
	v_mul_f64 v[10:11], |v[0:1]|, s[38:39]
	s_mov_b32 s24, s86
	s_mov_b32 s28, s40
	;; [unrolled: 1-line block ×3, first 2 shown]
	v_rndne_f64_e32 v[14:15], v[10:11]
	v_fma_f64 v[10:11], v[14:15], s[24:25], |v[0:1]|
	v_mul_f64 v[12:13], v[14:15], s[40:41]
	v_fma_f64 v[21:22], v[14:15], s[40:41], v[10:11]
	v_add_f64 v[16:17], v[10:11], v[12:13]
	v_add_f64 v[19:20], v[10:11], -v[16:17]
	v_add_f64 v[16:17], v[16:17], -v[21:22]
	v_add_f64 v[10:11], v[19:20], v[12:13]
	v_fma_f64 v[12:13], v[14:15], s[28:29], v[12:13]
	v_cvt_i32_f64_e32 v19, v[14:15]
	v_add_f64 v[10:11], v[16:17], v[10:11]
	v_add_f64 v[10:11], v[10:11], -v[12:13]
	v_fma_f64 v[12:13], v[14:15], s[42:43], v[10:11]
	v_add_f64 v[10:11], v[21:22], v[12:13]
	v_add_f64 v[16:17], v[10:11], -v[21:22]
	v_add_f64 v[12:13], v[12:13], -v[16:17]
.LBB0_63:                               ;   in Loop: Header=BB0_34 Depth=1
	s_or_b64 exec, exec, s[6:7]
	buffer_load_dword v24, off, s[0:3], 0 offset:112 ; 4-byte Folded Reload
	buffer_load_dword v25, off, s[0:3], 0 offset:116 ; 4-byte Folded Reload
	v_mul_f64 v[16:17], v[10:11], v[10:11]
	s_mov_b32 s54, s94
	v_mul_f64 v[14:15], v[16:17], 0.5
	v_add_f64 v[20:21], -v[14:15], 1.0
	v_add_f64 v[22:23], -v[20:21], 1.0
	v_add_f64 v[14:15], v[22:23], -v[14:15]
	v_mul_f64 v[22:23], v[16:17], v[16:17]
	v_fma_f64 v[14:15], v[10:11], -v[12:13], v[14:15]
	s_waitcnt vmcnt(0)
	v_fma_f64 v[24:25], v[16:17], s[46:47], v[24:25]
	v_fma_f64 v[24:25], v[16:17], v[24:25], s[48:49]
	;; [unrolled: 1-line block ×6, first 2 shown]
	v_mul_f64 v[22:23], v[10:11], -v[16:17]
	v_mul_f64 v[24:25], v[12:13], 0.5
	v_add_f64 v[14:15], v[20:21], v[14:15]
	buffer_load_dword v20, off, s[0:3], 0 offset:120 ; 4-byte Folded Reload
	buffer_load_dword v21, off, s[0:3], 0 offset:124 ; 4-byte Folded Reload
	s_waitcnt vmcnt(0)
	v_fma_f64 v[20:21], v[16:17], s[58:59], v[20:21]
	v_fma_f64 v[20:21], v[16:17], v[20:21], s[60:61]
	;; [unrolled: 1-line block ×5, first 2 shown]
	v_fma_f64 v[12:13], v[16:17], v[20:21], -v[12:13]
	v_fma_f64 v[12:13], v[22:23], s[54:55], v[12:13]
	v_add_f64 v[10:11], v[10:11], -v[12:13]
	v_and_b32_e32 v12, 1, v19
	v_cmp_eq_u32_e32 vcc, 0, v12
	v_lshlrev_b32_e32 v12, 30, v19
	v_and_b32_e32 v12, 0x80000000, v12
	v_xor_b32_e32 v11, 0x80000000, v11
	v_cndmask_b32_e32 v10, v10, v14, vcc
	v_cndmask_b32_e32 v11, v11, v15, vcc
	v_cmp_class_f64_e64 vcc, v[0:1], s67
	v_xor_b32_e32 v11, v11, v12
                                        ; implicit-def: $vgpr14
                                        ; implicit-def: $vgpr12_vgpr13
	v_cndmask_b32_e32 v11, v61, v11, vcc
	v_cndmask_b32_e32 v10, 0, v10, vcc
	buffer_store_dword v10, off, s[0:3], 0 offset:48
	buffer_store_dword v11, off, s[0:3], 0 offset:52
                                        ; implicit-def: $vgpr10_vgpr11
	s_and_saveexec_b64 s[6:7], s[8:9]
	s_xor_b64 s[28:29], exec, s[6:7]
	s_cbranch_execz .LBB0_65
; %bb.64:                               ;   in Loop: Header=BB0_34 Depth=1
	v_cmp_ge_f64_e64 s[6:7], |v[0:1]|, s[82:83]
	v_cndmask_b32_e64 v11, v18, v9, s[6:7]
	v_cndmask_b32_e64 v10, v0, v8, s[6:7]
	v_mul_f64 v[14:15], v[6:7], v[10:11]
	v_mul_f64 v[12:13], v[4:5], v[10:11]
	v_fma_f64 v[16:17], v[6:7], v[10:11], -v[14:15]
	v_add_f64 v[18:19], v[12:13], v[16:17]
	v_add_f64 v[22:23], v[18:19], -v[12:13]
	v_add_f64 v[20:21], v[14:15], v[18:19]
	v_add_f64 v[16:17], v[16:17], -v[22:23]
	v_add_f64 v[22:23], v[18:19], -v[22:23]
	v_ldexp_f64 v[6:7], v[20:21], -2
	v_add_f64 v[22:23], v[12:13], -v[22:23]
	v_fma_f64 v[12:13], v[4:5], v[10:11], -v[12:13]
	v_add_f64 v[4:5], v[20:21], -v[14:15]
	v_fract_f64_e32 v[8:9], v[6:7]
	v_cmp_neq_f64_e64 s[6:7], |v[6:7]|, s[84:85]
	v_add_f64 v[16:17], v[16:17], v[22:23]
	v_mul_f64 v[22:23], v[2:3], v[10:11]
	v_add_f64 v[14:15], v[18:19], -v[4:5]
	v_ldexp_f64 v[8:9], v[8:9], 2
	v_add_f64 v[24:25], v[22:23], v[12:13]
	v_fma_f64 v[2:3], v[2:3], v[10:11], -v[22:23]
	v_cndmask_b32_e64 v7, 0, v9, s[6:7]
	v_cndmask_b32_e64 v6, 0, v8, s[6:7]
	v_add_f64 v[26:27], v[24:25], v[16:17]
	v_add_f64 v[4:5], v[14:15], v[26:27]
	v_add_f64 v[18:19], v[26:27], -v[24:25]
	v_add_f64 v[8:9], v[4:5], v[6:7]
	v_add_f64 v[16:17], v[16:17], -v[18:19]
	v_add_f64 v[18:19], v[26:27], -v[18:19]
	;; [unrolled: 1-line block ×3, first 2 shown]
	v_cmp_gt_f64_e64 s[6:7], 0, v[8:9]
	v_mov_b32_e32 v8, 0x40100000
	v_add_f64 v[18:19], v[24:25], -v[18:19]
	v_add_f64 v[14:15], v[26:27], -v[14:15]
	v_cndmask_b32_e64 v56, 0, v8, s[6:7]
	v_add_f64 v[6:7], v[6:7], v[55:56]
	v_add_f64 v[16:17], v[16:17], v[18:19]
	v_add_f64 v[18:19], v[24:25], -v[22:23]
	v_add_f64 v[8:9], v[4:5], v[6:7]
	v_add_f64 v[12:13], v[12:13], -v[18:19]
	v_add_f64 v[18:19], v[24:25], -v[18:19]
	v_cvt_i32_f64_e32 v10, v[8:9]
	v_add_f64 v[18:19], v[22:23], -v[18:19]
	v_cvt_f64_i32_e32 v[8:9], v10
	v_add_f64 v[6:7], v[6:7], -v[8:9]
	v_add_f64 v[12:13], v[12:13], v[18:19]
	v_add_f64 v[8:9], v[4:5], v[6:7]
	;; [unrolled: 1-line block ×3, first 2 shown]
	v_add_f64 v[6:7], v[8:9], -v[6:7]
	v_cmp_le_f64_e64 s[6:7], 0.5, v[8:9]
	v_add_f64 v[2:3], v[2:3], v[12:13]
	v_add_f64 v[4:5], v[4:5], -v[6:7]
	v_add_f64 v[2:3], v[14:15], v[2:3]
	v_addc_co_u32_e64 v14, s[8:9], 0, v10, s[6:7]
	v_add_f64 v[2:3], v[2:3], v[4:5]
	v_mov_b32_e32 v4, 0x3ff00000
	v_cndmask_b32_e64 v56, 0, v4, s[6:7]
	v_add_f64 v[4:5], v[8:9], -v[55:56]
	v_add_f64 v[6:7], v[4:5], v[2:3]
	v_add_f64 v[4:5], v[6:7], -v[4:5]
	v_add_f64 v[2:3], v[2:3], -v[4:5]
	v_mul_f64 v[4:5], v[6:7], s[86:87]
	v_fma_f64 v[8:9], v[6:7], s[86:87], -v[4:5]
	v_fma_f64 v[6:7], v[6:7], s[36:37], v[8:9]
	v_fma_f64 v[2:3], v[2:3], s[86:87], v[6:7]
	v_add_f64 v[10:11], v[4:5], v[2:3]
	v_add_f64 v[4:5], v[10:11], -v[4:5]
	v_add_f64 v[12:13], v[2:3], -v[4:5]
.LBB0_65:                               ;   in Loop: Header=BB0_34 Depth=1
	s_andn2_saveexec_b64 s[6:7], s[28:29]
	s_cbranch_execz .LBB0_67
; %bb.66:                               ;   in Loop: Header=BB0_34 Depth=1
	v_mul_f64 v[2:3], |v[0:1]|, s[38:39]
	s_mov_b32 s24, s86
	s_mov_b32 s8, s40
	;; [unrolled: 1-line block ×3, first 2 shown]
	v_rndne_f64_e32 v[2:3], v[2:3]
	v_fma_f64 v[4:5], v[2:3], s[24:25], |v[0:1]|
	v_mul_f64 v[6:7], v[2:3], s[40:41]
	v_cvt_i32_f64_e32 v14, v[2:3]
	v_add_f64 v[8:9], v[4:5], v[6:7]
	v_add_f64 v[10:11], v[4:5], -v[8:9]
	v_fma_f64 v[4:5], v[2:3], s[40:41], v[4:5]
	v_add_f64 v[10:11], v[10:11], v[6:7]
	v_add_f64 v[8:9], v[8:9], -v[4:5]
	v_fma_f64 v[6:7], v[2:3], s[8:9], v[6:7]
	v_add_f64 v[8:9], v[8:9], v[10:11]
	v_add_f64 v[6:7], v[8:9], -v[6:7]
	v_fma_f64 v[6:7], v[2:3], s[42:43], v[6:7]
	v_add_f64 v[10:11], v[4:5], v[6:7]
	v_add_f64 v[4:5], v[10:11], -v[4:5]
	v_add_f64 v[12:13], v[6:7], -v[4:5]
.LBB0_67:                               ;   in Loop: Header=BB0_34 Depth=1
	s_or_b64 exec, exec, s[6:7]
	buffer_load_dword v15, off, s[0:3], 0 offset:112 ; 4-byte Folded Reload
	buffer_load_dword v16, off, s[0:3], 0 offset:116 ; 4-byte Folded Reload
	v_mul_f64 v[2:3], v[10:11], v[10:11]
	s_mov_b32 s54, s94
	v_and_b32_e32 v0, 1, v14
	v_cmp_eq_u32_e64 s[6:7], 0, v0
	v_mul_f64 v[4:5], v[2:3], 0.5
	v_add_f64 v[6:7], -v[4:5], 1.0
	v_add_f64 v[8:9], -v[6:7], 1.0
	v_add_f64 v[4:5], v[8:9], -v[4:5]
	v_mul_f64 v[8:9], v[2:3], v[2:3]
	v_fma_f64 v[4:5], v[10:11], -v[12:13], v[4:5]
	s_waitcnt vmcnt(0)
	v_fma_f64 v[15:16], v[2:3], s[46:47], v[15:16]
	v_fma_f64 v[15:16], v[2:3], v[15:16], s[48:49]
	;; [unrolled: 1-line block ×6, first 2 shown]
	v_mul_f64 v[8:9], v[10:11], -v[2:3]
	v_mul_f64 v[15:16], v[12:13], 0.5
	v_add_f64 v[4:5], v[6:7], v[4:5]
	buffer_load_dword v6, off, s[0:3], 0 offset:120 ; 4-byte Folded Reload
	buffer_load_dword v7, off, s[0:3], 0 offset:124 ; 4-byte Folded Reload
	s_waitcnt vmcnt(0)
	v_fma_f64 v[6:7], v[2:3], s[58:59], v[6:7]
	v_fma_f64 v[6:7], v[2:3], v[6:7], s[60:61]
	;; [unrolled: 1-line block ×5, first 2 shown]
	v_fma_f64 v[2:3], v[2:3], v[6:7], -v[12:13]
	v_fma_f64 v[2:3], v[8:9], s[54:55], v[2:3]
	v_add_f64 v[2:3], v[10:11], -v[2:3]
	v_cndmask_b32_e64 v0, v4, v2, s[6:7]
	v_cndmask_b32_e64 v2, v5, v3, s[6:7]
	v_lshlrev_b32_e32 v3, 30, v14
	v_xor_b32_e32 v1, v3, v1
	v_and_b32_e32 v1, 0x80000000, v1
	v_xor_b32_e32 v1, v2, v1
	v_mov_b32_e32 v2, 0xfff80000
	v_cndmask_b32_e32 v0, 0, v0, vcc
	v_cndmask_b32_e64 v1, v2, -v1, vcc
	buffer_store_dword v0, off, s[0:3], 0 offset:56
	buffer_store_dword v1, off, s[0:3], 0 offset:60
	v_mad_u64_u32 v[0:1], s[6:7], v44, s27, v[45:46]
	v_cndmask_b32_e64 v1, 0, 1, s[4:5]
	v_sub_u32_e32 v0, v0, v1
	v_ashrrev_i32_e32 v1, 31, v0
	v_lshlrev_b64 v[0:1], 5, v[0:1]
	v_add_co_u32_e32 v4, vcc, s20, v0
	v_mov_b32_e32 v0, s21
	v_addc_co_u32_e32 v5, vcc, v0, v1, vcc
	global_load_dwordx4 v[0:3], v[4:5], off offset:16
	s_nop 0
	global_load_dwordx4 v[4:7], v[4:5], off
	s_waitcnt vmcnt(1)
	v_mul_f64 v[0:1], v[40:41], v[0:1]
	s_waitcnt vmcnt(0)
	v_mul_f64 v[48:49], v[40:41], v[4:5]
	v_mul_f64 v[50:51], v[40:41], v[6:7]
	v_cmp_lt_i32_e32 vcc, v2, v3
	s_and_saveexec_b64 s[6:7], vcc
	s_cbranch_execz .LBB0_71
; %bb.68:                               ;   in Loop: Header=BB0_34 Depth=1
	v_readlane_b32 s8, v63, 0
	v_readlane_b32 s9, v63, 1
	v_mad_u64_u32 v[4:5], s[8:9], v44, s8, v[2:3]
	v_mov_b32_e32 v5, s22
	v_mov_b32_e32 v6, s23
	v_mad_i64_i32 v[16:17], s[8:9], v4, s66, v[5:6]
	s_mov_b64 s[8:9], 0
	v_mov_b32_e32 v35, 0
.LBB0_69:                               ;   Parent Loop BB0_34 Depth=1
                                        ; =>  This Inner Loop Header: Depth=2
	global_load_dwordx4 v[4:7], v[16:17], off offset:48
	global_load_dwordx4 v[8:11], v[16:17], off offset:32
	;; [unrolled: 1-line block ×3, first 2 shown]
	global_load_dwordx4 v[23:26], v[16:17], off
	global_load_sshort v20, v[16:17], off offset:64
	v_add_u32_e32 v2, 1, v2
	s_waitcnt vmcnt(1)
	v_add_f64 v[21:22], v[23:24], -v[29:30]
	v_mul_f64 v[18:19], v[25:26], v[25:26]
	v_fma_f64 v[23:24], v[21:22], 0, v[25:26]
	v_fma_f64 v[18:19], v[21:22], v[21:22], v[18:19]
	;; [unrolled: 1-line block ×3, first 2 shown]
	v_div_scale_f64 v[27:28], s[28:29], v[18:19], v[18:19], v[23:24]
	v_div_scale_f64 v[25:26], s[28:29], v[18:19], v[18:19], v[21:22]
	v_rcp_f64_e32 v[29:30], v[27:28]
	v_fma_f64 v[31:32], -v[27:28], v[29:30], 1.0
	v_fma_f64 v[29:30], v[29:30], v[31:32], v[29:30]
	v_fma_f64 v[31:32], -v[27:28], v[29:30], 1.0
	v_fma_f64 v[29:30], v[29:30], v[31:32], v[29:30]
	v_div_scale_f64 v[31:32], vcc, v[23:24], v[18:19], v[23:24]
	v_mul_f64 v[33:34], v[31:32], v[29:30]
	v_fma_f64 v[27:28], -v[27:28], v[33:34], v[31:32]
	s_nop 1
	v_div_fmas_f64 v[27:28], v[27:28], v[29:30], v[33:34]
	v_div_fixup_f64 v[23:24], v[27:28], v[18:19], v[23:24]
	v_rcp_f64_e32 v[27:28], v[25:26]
	v_fma_f64 v[29:30], -v[25:26], v[27:28], 1.0
	v_fma_f64 v[27:28], v[27:28], v[29:30], v[27:28]
	v_fma_f64 v[29:30], -v[25:26], v[27:28], 1.0
	v_fma_f64 v[27:28], v[27:28], v[29:30], v[27:28]
	v_div_scale_f64 v[29:30], vcc, v[21:22], v[18:19], v[21:22]
	v_mul_f64 v[31:32], v[29:30], v[27:28]
	v_fma_f64 v[25:26], -v[25:26], v[31:32], v[29:30]
	s_nop 1
	v_div_fmas_f64 v[25:26], v[25:26], v[27:28], v[31:32]
	v_div_fixup_f64 v[21:22], v[25:26], v[18:19], v[21:22]
	buffer_load_dword v25, off, s[0:3], 0 offset:64 ; 4-byte Folded Reload
	buffer_load_dword v26, off, s[0:3], 0 offset:68 ; 4-byte Folded Reload
	v_mul_f64 v[18:19], v[21:22], 0
	v_fma_f64 v[18:19], v[40:41], v[23:24], v[18:19]
	v_mul_f64 v[23:24], v[23:24], s[88:89]
	v_fma_f64 v[21:22], v[40:41], v[21:22], v[23:24]
	s_waitcnt vmcnt(0)
	v_div_scale_f64 v[25:26], s[28:29], v[25:26], v[25:26], v[18:19]
	v_rcp_f64_e32 v[27:28], v[25:26]
	v_fma_f64 v[29:30], -v[25:26], v[27:28], 1.0
	v_fma_f64 v[27:28], v[27:28], v[29:30], v[27:28]
	v_fma_f64 v[29:30], -v[25:26], v[27:28], 1.0
	v_fma_f64 v[27:28], v[27:28], v[29:30], v[27:28]
	buffer_load_dword v29, off, s[0:3], 0 offset:64 ; 4-byte Folded Reload
	buffer_load_dword v30, off, s[0:3], 0 offset:68 ; 4-byte Folded Reload
	s_waitcnt vmcnt(0)
	v_div_scale_f64 v[29:30], vcc, v[18:19], v[29:30], v[18:19]
	v_mul_f64 v[31:32], v[29:30], v[27:28]
	v_fma_f64 v[25:26], -v[25:26], v[31:32], v[29:30]
	s_nop 1
	v_div_fmas_f64 v[25:26], v[25:26], v[27:28], v[31:32]
	buffer_load_dword v31, off, s[0:3], 0 offset:64 ; 4-byte Folded Reload
	buffer_load_dword v32, off, s[0:3], 0 offset:68 ; 4-byte Folded Reload
	s_waitcnt vmcnt(0)
	v_div_scale_f64 v[23:24], s[28:29], v[31:32], v[31:32], v[21:22]
	v_div_fixup_f64 v[18:19], v[25:26], v[31:32], v[18:19]
	v_rcp_f64_e32 v[25:26], v[23:24]
	v_fma_f64 v[27:28], -v[23:24], v[25:26], 1.0
	v_fma_f64 v[25:26], v[25:26], v[27:28], v[25:26]
	v_fma_f64 v[27:28], -v[23:24], v[25:26], 1.0
	v_fma_f64 v[25:26], v[25:26], v[27:28], v[25:26]
	v_div_scale_f64 v[27:28], vcc, v[21:22], v[31:32], v[21:22]
	v_mul_f64 v[29:30], v[27:28], v[25:26]
	v_fma_f64 v[23:24], -v[23:24], v[29:30], v[27:28]
	s_nop 1
	v_div_fmas_f64 v[23:24], v[23:24], v[25:26], v[29:30]
	buffer_load_dword v29, off, s[0:3], 0 offset:72 ; 4-byte Folded Reload
	buffer_load_dword v30, off, s[0:3], 0 offset:76 ; 4-byte Folded Reload
	v_add_co_u32_e32 v16, vcc, 0x48, v16
	v_addc_co_u32_e32 v17, vcc, 0, v17, vcc
	v_cmp_ge_i32_e32 vcc, v2, v3
	s_or_b64 s[8:9], vcc, s[8:9]
	v_div_fixup_f64 v[23:24], v[23:24], v[31:32], v[21:22]
	v_lshl_add_u32 v22, v20, 4, v35
	buffer_load_dword v20, v22, s[0:3], 0 offen
	buffer_load_dword v21, v22, s[0:3], 0 offen offset:4
	buffer_load_dword v25, v22, s[0:3], 0 offen offset:8
	;; [unrolled: 1-line block ×3, first 2 shown]
	v_mul_f64 v[10:11], v[10:11], v[23:24]
	v_mul_f64 v[6:7], v[6:7], v[23:24]
	v_fma_f64 v[8:9], v[8:9], v[18:19], -v[10:11]
	v_fma_f64 v[4:5], v[4:5], v[18:19], -v[6:7]
	v_add_f64 v[50:51], v[50:51], v[8:9]
	v_add_f64 v[0:1], v[0:1], v[4:5]
	s_waitcnt vmcnt(0)
	v_mul_f64 v[27:28], v[23:24], v[25:26]
	v_mul_f64 v[25:26], v[18:19], v[25:26]
	v_fma_f64 v[27:28], v[18:19], v[20:21], -v[27:28]
	v_fma_f64 v[20:21], v[23:24], v[20:21], v[25:26]
	v_mul_f64 v[14:15], v[14:15], v[20:21]
	v_fma_f64 v[12:13], v[12:13], v[27:28], -v[14:15]
	v_add_f64 v[48:49], v[48:49], v[12:13]
	s_andn2_b64 exec, exec, s[8:9]
	s_cbranch_execnz .LBB0_69
; %bb.70:                               ;   in Loop: Header=BB0_34 Depth=1
	s_or_b64 exec, exec, s[8:9]
.LBB0_71:                               ;   in Loop: Header=BB0_34 Depth=1
	s_or_b64 exec, exec, s[6:7]
	v_add_f64 v[2:3], v[48:49], -v[50:51]
	s_mov_b64 s[6:7], 0
.LBB0_72:                               ;   in Loop: Header=BB0_34 Depth=1
	s_and_b64 vcc, exec, s[6:7]
	s_cbranch_vccz .LBB0_33
; %bb.73:                               ;   in Loop: Header=BB0_34 Depth=1
	global_load_dwordx2 v[0:1], v[46:47], off
                                        ; implicit-def: $vgpr19
                                        ; implicit-def: $vgpr10_vgpr11
                                        ; implicit-def: $vgpr12_vgpr13
	s_waitcnt vmcnt(0)
	v_mul_f64 v[0:1], v[29:30], v[0:1]
	v_add_f64 v[0:1], v[0:1], v[0:1]
	v_trig_preop_f64 v[6:7], |v[0:1]|, 0
	v_trig_preop_f64 v[4:5], |v[0:1]|, 1
	;; [unrolled: 1-line block ×3, first 2 shown]
	v_cmp_nlt_f64_e64 s[8:9], |v[0:1]|, s[80:81]
	v_ldexp_f64 v[8:9], |v[0:1]|, s13
	v_and_b32_e32 v18, 0x7fffffff, v1
	s_and_saveexec_b64 s[6:7], s[8:9]
	s_xor_b64 s[28:29], exec, s[6:7]
	s_cbranch_execz .LBB0_75
; %bb.74:                               ;   in Loop: Header=BB0_34 Depth=1
	v_cmp_ge_f64_e64 vcc, |v[0:1]|, s[82:83]
	v_cndmask_b32_e32 v15, v18, v9, vcc
	v_cndmask_b32_e32 v14, v0, v8, vcc
	v_mul_f64 v[19:20], v[6:7], v[14:15]
	v_mul_f64 v[10:11], v[4:5], v[14:15]
	;; [unrolled: 1-line block ×3, first 2 shown]
	v_fma_f64 v[23:24], v[6:7], v[14:15], -v[19:20]
	v_add_f64 v[25:26], v[10:11], v[23:24]
	v_add_f64 v[29:30], v[25:26], -v[10:11]
	v_add_f64 v[27:28], v[19:20], v[25:26]
	v_add_f64 v[23:24], v[23:24], -v[29:30]
	v_add_f64 v[29:30], v[25:26], -v[29:30]
	v_ldexp_f64 v[12:13], v[27:28], -2
	v_add_f64 v[29:30], v[10:11], -v[29:30]
	v_fract_f64_e32 v[16:17], v[12:13]
	v_cmp_neq_f64_e64 vcc, |v[12:13]|, s[84:85]
	v_add_f64 v[23:24], v[23:24], v[29:30]
	v_fma_f64 v[29:30], v[4:5], v[14:15], -v[10:11]
	v_add_f64 v[10:11], v[27:28], -v[19:20]
	v_ldexp_f64 v[16:17], v[16:17], 2
	v_fma_f64 v[14:15], v[2:3], v[14:15], -v[31:32]
	v_add_f64 v[33:34], v[31:32], v[29:30]
	v_add_f64 v[19:20], v[25:26], -v[10:11]
	v_cndmask_b32_e32 v13, 0, v17, vcc
	v_cndmask_b32_e32 v12, 0, v16, vcc
	v_add_f64 v[35:36], v[33:34], v[23:24]
	v_add_f64 v[25:26], v[35:36], -v[33:34]
	v_add_f64 v[10:11], v[19:20], v[35:36]
	v_add_f64 v[23:24], v[23:24], -v[25:26]
	v_add_f64 v[25:26], v[35:36], -v[25:26]
	v_add_f64 v[16:17], v[10:11], v[12:13]
	v_add_f64 v[19:20], v[10:11], -v[19:20]
	v_add_f64 v[25:26], v[33:34], -v[25:26]
	v_cmp_gt_f64_e32 vcc, 0, v[16:17]
	v_mov_b32_e32 v16, 0x40100000
	v_add_f64 v[19:20], v[35:36], -v[19:20]
	v_add_f64 v[23:24], v[23:24], v[25:26]
	v_add_f64 v[25:26], v[33:34], -v[31:32]
	v_cndmask_b32_e32 v56, 0, v16, vcc
	v_add_f64 v[12:13], v[12:13], v[55:56]
	v_add_f64 v[27:28], v[29:30], -v[25:26]
	v_add_f64 v[25:26], v[33:34], -v[25:26]
	v_add_f64 v[16:17], v[10:11], v[12:13]
	buffer_load_dword v29, off, s[0:3], 0 offset:72 ; 4-byte Folded Reload
	buffer_load_dword v30, off, s[0:3], 0 offset:76 ; 4-byte Folded Reload
	v_add_f64 v[25:26], v[31:32], -v[25:26]
	v_add_f64 v[25:26], v[27:28], v[25:26]
	v_add_f64 v[23:24], v[25:26], v[23:24]
	;; [unrolled: 1-line block ×4, first 2 shown]
	v_cvt_i32_f64_e32 v19, v[16:17]
	v_cvt_f64_i32_e32 v[16:17], v19
	v_add_f64 v[12:13], v[12:13], -v[16:17]
	v_add_f64 v[16:17], v[10:11], v[12:13]
	v_add_f64 v[12:13], v[16:17], -v[12:13]
	v_cmp_le_f64_e32 vcc, 0.5, v[16:17]
	v_add_f64 v[10:11], v[10:11], -v[12:13]
	v_mov_b32_e32 v12, 0x3ff00000
	v_cndmask_b32_e32 v56, 0, v12, vcc
	v_add_f64 v[12:13], v[16:17], -v[55:56]
	v_addc_co_u32_e64 v19, s[6:7], 0, v19, vcc
	v_add_f64 v[10:11], v[14:15], v[10:11]
	v_add_f64 v[14:15], v[12:13], v[10:11]
	v_add_f64 v[12:13], v[14:15], -v[12:13]
	v_add_f64 v[10:11], v[10:11], -v[12:13]
	v_mul_f64 v[12:13], v[14:15], s[86:87]
	v_fma_f64 v[16:17], v[14:15], s[86:87], -v[12:13]
	v_fma_f64 v[14:15], v[14:15], s[36:37], v[16:17]
	v_fma_f64 v[14:15], v[10:11], s[86:87], v[14:15]
	v_add_f64 v[10:11], v[12:13], v[14:15]
	v_add_f64 v[12:13], v[10:11], -v[12:13]
	v_add_f64 v[12:13], v[14:15], -v[12:13]
.LBB0_75:                               ;   in Loop: Header=BB0_34 Depth=1
	s_andn2_saveexec_b64 s[6:7], s[28:29]
	s_cbranch_execz .LBB0_77
; %bb.76:                               ;   in Loop: Header=BB0_34 Depth=1
	v_mul_f64 v[10:11], |v[0:1]|, s[38:39]
	s_mov_b32 s24, s86
	s_mov_b32 s28, s40
	;; [unrolled: 1-line block ×3, first 2 shown]
	v_rndne_f64_e32 v[14:15], v[10:11]
	v_fma_f64 v[10:11], v[14:15], s[24:25], |v[0:1]|
	v_mul_f64 v[12:13], v[14:15], s[40:41]
	v_fma_f64 v[23:24], v[14:15], s[40:41], v[10:11]
	v_add_f64 v[16:17], v[10:11], v[12:13]
	v_add_f64 v[19:20], v[10:11], -v[16:17]
	v_add_f64 v[16:17], v[16:17], -v[23:24]
	v_add_f64 v[10:11], v[19:20], v[12:13]
	v_fma_f64 v[12:13], v[14:15], s[28:29], v[12:13]
	v_cvt_i32_f64_e32 v19, v[14:15]
	v_add_f64 v[10:11], v[16:17], v[10:11]
	v_add_f64 v[10:11], v[10:11], -v[12:13]
	v_fma_f64 v[12:13], v[14:15], s[42:43], v[10:11]
	v_add_f64 v[10:11], v[23:24], v[12:13]
	v_add_f64 v[16:17], v[10:11], -v[23:24]
	v_add_f64 v[12:13], v[12:13], -v[16:17]
.LBB0_77:                               ;   in Loop: Header=BB0_34 Depth=1
	s_or_b64 exec, exec, s[6:7]
	buffer_load_dword v25, off, s[0:3], 0 offset:112 ; 4-byte Folded Reload
	buffer_load_dword v26, off, s[0:3], 0 offset:116 ; 4-byte Folded Reload
	v_mul_f64 v[16:17], v[10:11], v[10:11]
	s_mov_b32 s54, s94
	v_mul_f64 v[14:15], v[16:17], 0.5
	v_add_f64 v[20:21], -v[14:15], 1.0
	v_add_f64 v[23:24], -v[20:21], 1.0
	v_add_f64 v[14:15], v[23:24], -v[14:15]
	v_mul_f64 v[23:24], v[16:17], v[16:17]
	v_fma_f64 v[14:15], v[10:11], -v[12:13], v[14:15]
	s_waitcnt vmcnt(0)
	v_fma_f64 v[25:26], v[16:17], s[46:47], v[25:26]
	v_fma_f64 v[25:26], v[16:17], v[25:26], s[48:49]
	;; [unrolled: 1-line block ×6, first 2 shown]
	v_mul_f64 v[23:24], v[10:11], -v[16:17]
	v_mul_f64 v[25:26], v[12:13], 0.5
	v_add_f64 v[14:15], v[20:21], v[14:15]
	buffer_load_dword v20, off, s[0:3], 0 offset:120 ; 4-byte Folded Reload
	buffer_load_dword v21, off, s[0:3], 0 offset:124 ; 4-byte Folded Reload
	s_waitcnt vmcnt(0)
	v_fma_f64 v[20:21], v[16:17], s[58:59], v[20:21]
	v_fma_f64 v[20:21], v[16:17], v[20:21], s[60:61]
	;; [unrolled: 1-line block ×5, first 2 shown]
	v_fma_f64 v[12:13], v[16:17], v[20:21], -v[12:13]
	v_fma_f64 v[12:13], v[23:24], s[54:55], v[12:13]
	v_add_f64 v[10:11], v[10:11], -v[12:13]
	v_and_b32_e32 v12, 1, v19
	v_cmp_eq_u32_e32 vcc, 0, v12
	v_lshlrev_b32_e32 v12, 30, v19
	v_and_b32_e32 v12, 0x80000000, v12
	v_xor_b32_e32 v11, 0x80000000, v11
	v_cndmask_b32_e32 v10, v10, v14, vcc
	v_cndmask_b32_e32 v11, v11, v15, vcc
	v_cmp_class_f64_e64 vcc, v[0:1], s67
	v_xor_b32_e32 v11, v11, v12
                                        ; implicit-def: $vgpr14
                                        ; implicit-def: $vgpr12_vgpr13
	v_cndmask_b32_e32 v11, v61, v11, vcc
	v_cndmask_b32_e32 v10, 0, v10, vcc
	buffer_store_dword v10, off, s[0:3], 0
	buffer_store_dword v11, off, s[0:3], 0 offset:4
                                        ; implicit-def: $vgpr10_vgpr11
	s_and_saveexec_b64 s[6:7], s[8:9]
	s_xor_b64 s[28:29], exec, s[6:7]
	s_cbranch_execz .LBB0_79
; %bb.78:                               ;   in Loop: Header=BB0_34 Depth=1
	v_cmp_ge_f64_e64 s[6:7], |v[0:1]|, s[82:83]
	v_cndmask_b32_e64 v11, v18, v9, s[6:7]
	v_cndmask_b32_e64 v10, v0, v8, s[6:7]
	v_mul_f64 v[14:15], v[6:7], v[10:11]
	v_mul_f64 v[12:13], v[4:5], v[10:11]
	v_fma_f64 v[16:17], v[6:7], v[10:11], -v[14:15]
	v_add_f64 v[18:19], v[12:13], v[16:17]
	v_add_f64 v[23:24], v[18:19], -v[12:13]
	v_add_f64 v[20:21], v[14:15], v[18:19]
	v_add_f64 v[16:17], v[16:17], -v[23:24]
	v_add_f64 v[23:24], v[18:19], -v[23:24]
	v_ldexp_f64 v[6:7], v[20:21], -2
	v_add_f64 v[23:24], v[12:13], -v[23:24]
	v_fma_f64 v[12:13], v[4:5], v[10:11], -v[12:13]
	v_add_f64 v[4:5], v[20:21], -v[14:15]
	v_fract_f64_e32 v[8:9], v[6:7]
	v_cmp_neq_f64_e64 s[6:7], |v[6:7]|, s[84:85]
	v_add_f64 v[16:17], v[16:17], v[23:24]
	v_mul_f64 v[23:24], v[2:3], v[10:11]
	v_add_f64 v[14:15], v[18:19], -v[4:5]
	v_ldexp_f64 v[8:9], v[8:9], 2
	v_add_f64 v[25:26], v[23:24], v[12:13]
	v_fma_f64 v[2:3], v[2:3], v[10:11], -v[23:24]
	v_cndmask_b32_e64 v7, 0, v9, s[6:7]
	v_cndmask_b32_e64 v6, 0, v8, s[6:7]
	v_add_f64 v[27:28], v[25:26], v[16:17]
	v_add_f64 v[4:5], v[14:15], v[27:28]
	v_add_f64 v[18:19], v[27:28], -v[25:26]
	v_add_f64 v[8:9], v[4:5], v[6:7]
	v_add_f64 v[16:17], v[16:17], -v[18:19]
	v_add_f64 v[18:19], v[27:28], -v[18:19]
	;; [unrolled: 1-line block ×3, first 2 shown]
	v_cmp_gt_f64_e64 s[6:7], 0, v[8:9]
	v_mov_b32_e32 v8, 0x40100000
	v_add_f64 v[18:19], v[25:26], -v[18:19]
	v_add_f64 v[14:15], v[27:28], -v[14:15]
	v_cndmask_b32_e64 v56, 0, v8, s[6:7]
	v_add_f64 v[6:7], v[6:7], v[55:56]
	v_add_f64 v[16:17], v[16:17], v[18:19]
	v_add_f64 v[18:19], v[25:26], -v[23:24]
	v_add_f64 v[8:9], v[4:5], v[6:7]
	v_add_f64 v[12:13], v[12:13], -v[18:19]
	v_add_f64 v[18:19], v[25:26], -v[18:19]
	v_cvt_i32_f64_e32 v10, v[8:9]
	v_add_f64 v[18:19], v[23:24], -v[18:19]
	v_cvt_f64_i32_e32 v[8:9], v10
	v_add_f64 v[6:7], v[6:7], -v[8:9]
	v_add_f64 v[12:13], v[12:13], v[18:19]
	v_add_f64 v[8:9], v[4:5], v[6:7]
	;; [unrolled: 1-line block ×3, first 2 shown]
	v_add_f64 v[6:7], v[8:9], -v[6:7]
	v_cmp_le_f64_e64 s[6:7], 0.5, v[8:9]
	v_add_f64 v[2:3], v[2:3], v[12:13]
	v_add_f64 v[4:5], v[4:5], -v[6:7]
	v_add_f64 v[2:3], v[14:15], v[2:3]
	v_addc_co_u32_e64 v14, s[8:9], 0, v10, s[6:7]
	v_add_f64 v[2:3], v[2:3], v[4:5]
	v_mov_b32_e32 v4, 0x3ff00000
	v_cndmask_b32_e64 v56, 0, v4, s[6:7]
	v_add_f64 v[4:5], v[8:9], -v[55:56]
	v_add_f64 v[6:7], v[4:5], v[2:3]
	v_add_f64 v[4:5], v[6:7], -v[4:5]
	v_add_f64 v[2:3], v[2:3], -v[4:5]
	v_mul_f64 v[4:5], v[6:7], s[86:87]
	v_fma_f64 v[8:9], v[6:7], s[86:87], -v[4:5]
	v_fma_f64 v[6:7], v[6:7], s[36:37], v[8:9]
	v_fma_f64 v[2:3], v[2:3], s[86:87], v[6:7]
	v_add_f64 v[10:11], v[4:5], v[2:3]
	v_add_f64 v[4:5], v[10:11], -v[4:5]
	v_add_f64 v[12:13], v[2:3], -v[4:5]
.LBB0_79:                               ;   in Loop: Header=BB0_34 Depth=1
	s_andn2_saveexec_b64 s[6:7], s[28:29]
	s_cbranch_execz .LBB0_81
; %bb.80:                               ;   in Loop: Header=BB0_34 Depth=1
	v_mul_f64 v[2:3], |v[0:1]|, s[38:39]
	s_mov_b32 s24, s86
	s_mov_b32 s8, s40
	;; [unrolled: 1-line block ×3, first 2 shown]
	v_rndne_f64_e32 v[2:3], v[2:3]
	v_fma_f64 v[4:5], v[2:3], s[24:25], |v[0:1]|
	v_mul_f64 v[6:7], v[2:3], s[40:41]
	v_cvt_i32_f64_e32 v14, v[2:3]
	v_add_f64 v[8:9], v[4:5], v[6:7]
	v_add_f64 v[10:11], v[4:5], -v[8:9]
	v_fma_f64 v[4:5], v[2:3], s[40:41], v[4:5]
	v_add_f64 v[10:11], v[10:11], v[6:7]
	v_add_f64 v[8:9], v[8:9], -v[4:5]
	v_fma_f64 v[6:7], v[2:3], s[8:9], v[6:7]
	;; [unrolled: 3-line block ×3, first 2 shown]
	v_add_f64 v[10:11], v[4:5], v[6:7]
	v_add_f64 v[4:5], v[10:11], -v[4:5]
	v_add_f64 v[12:13], v[6:7], -v[4:5]
.LBB0_81:                               ;   in Loop: Header=BB0_34 Depth=1
	s_or_b64 exec, exec, s[6:7]
	buffer_load_dword v15, off, s[0:3], 0 offset:112 ; 4-byte Folded Reload
	buffer_load_dword v16, off, s[0:3], 0 offset:116 ; 4-byte Folded Reload
	v_mul_f64 v[2:3], v[10:11], v[10:11]
	s_mov_b32 s54, s94
	v_and_b32_e32 v0, 1, v14
	v_cmp_eq_u32_e64 s[6:7], 0, v0
                                        ; implicit-def: $vgpr19
	v_mul_f64 v[4:5], v[2:3], 0.5
	v_add_f64 v[6:7], -v[4:5], 1.0
	v_add_f64 v[8:9], -v[6:7], 1.0
	v_add_f64 v[4:5], v[8:9], -v[4:5]
	v_mul_f64 v[8:9], v[2:3], v[2:3]
	v_fma_f64 v[4:5], v[10:11], -v[12:13], v[4:5]
	s_waitcnt vmcnt(0)
	v_fma_f64 v[15:16], v[2:3], s[46:47], v[15:16]
	v_fma_f64 v[15:16], v[2:3], v[15:16], s[48:49]
	;; [unrolled: 1-line block ×6, first 2 shown]
	v_mul_f64 v[8:9], v[10:11], -v[2:3]
	v_mul_f64 v[15:16], v[12:13], 0.5
	v_add_f64 v[4:5], v[6:7], v[4:5]
	buffer_load_dword v6, off, s[0:3], 0 offset:120 ; 4-byte Folded Reload
	buffer_load_dword v7, off, s[0:3], 0 offset:124 ; 4-byte Folded Reload
	s_waitcnt vmcnt(0)
	v_fma_f64 v[6:7], v[2:3], s[58:59], v[6:7]
	v_fma_f64 v[6:7], v[2:3], v[6:7], s[60:61]
	;; [unrolled: 1-line block ×5, first 2 shown]
	v_fma_f64 v[2:3], v[2:3], v[6:7], -v[12:13]
	v_fma_f64 v[2:3], v[8:9], s[54:55], v[2:3]
	v_add_f64 v[2:3], v[10:11], -v[2:3]
	v_cndmask_b32_e64 v0, v4, v2, s[6:7]
	v_cndmask_b32_e64 v2, v5, v3, s[6:7]
	v_lshlrev_b32_e32 v3, 30, v14
	v_xor_b32_e32 v1, v3, v1
	v_and_b32_e32 v1, 0x80000000, v1
	v_xor_b32_e32 v1, v2, v1
	v_cndmask_b32_e32 v0, 0, v0, vcc
	v_mov_b32_e32 v2, 0xfff80000
	v_cndmask_b32_e64 v1, v2, -v1, vcc
	buffer_store_dword v0, off, s[0:3], 0 offset:8
	buffer_store_dword v1, off, s[0:3], 0 offset:12
	global_load_dwordx2 v[0:1], v[46:47], off offset:8
	s_waitcnt vmcnt(0)
	v_mul_f64 v[2:3], v[29:30], v[0:1]
	v_and_b32_e32 v5, 0x7fffffff, v3
	v_mov_b32_e32 v4, v2
	v_div_scale_f64 v[6:7], s[8:9], v[4:5], v[4:5], 1.0
	v_cmp_gt_f64_e64 s[6:7], |v[2:3]|, 1.0
	s_mov_b32 s8, 0xb5e68a13
	s_mov_b32 s9, 0x3eeba404
	v_rcp_f64_e32 v[8:9], v[6:7]
	v_fma_f64 v[10:11], -v[6:7], v[8:9], 1.0
	v_fma_f64 v[8:9], v[8:9], v[10:11], v[8:9]
	v_fma_f64 v[10:11], -v[6:7], v[8:9], 1.0
	v_fma_f64 v[8:9], v[8:9], v[10:11], v[8:9]
	v_div_scale_f64 v[10:11], vcc, 1.0, v[4:5], 1.0
	v_mul_f64 v[12:13], v[10:11], v[8:9]
	v_fma_f64 v[6:7], -v[6:7], v[12:13], v[10:11]
                                        ; implicit-def: $vgpr10_vgpr11
	s_nop 1
	v_div_fmas_f64 v[6:7], v[6:7], v[8:9], v[12:13]
	buffer_load_dword v8, off, s[0:3], 0 offset:172 ; 4-byte Folded Reload
	buffer_load_dword v9, off, s[0:3], 0 offset:176 ; 4-byte Folded Reload
                                        ; implicit-def: $vgpr12_vgpr13
	v_div_fixup_f64 v[6:7], v[6:7], |v[2:3]|, 1.0
	v_cndmask_b32_e64 v5, v5, v7, s[6:7]
	v_cndmask_b32_e64 v4, v2, v6, s[6:7]
	v_mul_f64 v[6:7], v[4:5], v[4:5]
	s_waitcnt vmcnt(0)
	v_fma_f64 v[8:9], v[6:7], s[8:9], v[8:9]
	s_mov_b32 s8, 0x69efb384
	s_mov_b32 s9, 0x3f4b2bb0
	v_fma_f64 v[8:9], v[6:7], v[8:9], s[8:9]
	s_mov_b32 s8, 0xaf56de9b
	s_mov_b32 s9, 0xbf67952d
	;; [unrolled: 3-line block ×19, first 2 shown]
	v_mul_f64 v[6:7], v[6:7], v[8:9]
	v_fma_f64 v[4:5], v[4:5], v[6:7], v[4:5]
	buffer_load_dword v6, off, s[0:3], 0 offset:180 ; 4-byte Folded Reload
	buffer_load_dword v7, off, s[0:3], 0 offset:184 ; 4-byte Folded Reload
	s_waitcnt vmcnt(0)
	v_fma_f64 v[6:7], s[8:9], v[6:7], -v[4:5]
	v_cndmask_b32_e64 v2, v4, v6, s[6:7]
	v_cndmask_b32_e64 v4, v5, v7, s[6:7]
	s_brev_b32 s6, -2
	v_bfi_b32 v3, s6, v4, v3
	v_fma_f64 v[0:1], v[29:30], v[0:1], v[2:3]
	v_add_f64 v[0:1], v[0:1], v[0:1]
	v_trig_preop_f64 v[6:7], |v[0:1]|, 0
	v_trig_preop_f64 v[4:5], |v[0:1]|, 1
	;; [unrolled: 1-line block ×3, first 2 shown]
	v_cmp_nlt_f64_e64 s[8:9], |v[0:1]|, s[80:81]
	v_ldexp_f64 v[8:9], |v[0:1]|, s13
	v_and_b32_e32 v18, 0x7fffffff, v1
	s_and_saveexec_b64 s[6:7], s[8:9]
	s_xor_b64 s[28:29], exec, s[6:7]
	s_cbranch_execz .LBB0_83
; %bb.82:                               ;   in Loop: Header=BB0_34 Depth=1
	v_cmp_ge_f64_e64 vcc, |v[0:1]|, s[82:83]
	v_cndmask_b32_e32 v15, v18, v9, vcc
	v_cndmask_b32_e32 v14, v0, v8, vcc
	v_mul_f64 v[19:20], v[6:7], v[14:15]
	v_mul_f64 v[10:11], v[4:5], v[14:15]
	v_mul_f64 v[31:32], v[2:3], v[14:15]
	v_fma_f64 v[23:24], v[6:7], v[14:15], -v[19:20]
	v_add_f64 v[25:26], v[10:11], v[23:24]
	v_add_f64 v[29:30], v[25:26], -v[10:11]
	v_add_f64 v[27:28], v[19:20], v[25:26]
	v_add_f64 v[23:24], v[23:24], -v[29:30]
	v_add_f64 v[29:30], v[25:26], -v[29:30]
	v_ldexp_f64 v[12:13], v[27:28], -2
	v_add_f64 v[29:30], v[10:11], -v[29:30]
	v_fract_f64_e32 v[16:17], v[12:13]
	v_cmp_neq_f64_e64 vcc, |v[12:13]|, s[84:85]
	v_add_f64 v[23:24], v[23:24], v[29:30]
	v_fma_f64 v[29:30], v[4:5], v[14:15], -v[10:11]
	v_add_f64 v[10:11], v[27:28], -v[19:20]
	v_ldexp_f64 v[16:17], v[16:17], 2
	v_fma_f64 v[14:15], v[2:3], v[14:15], -v[31:32]
	v_add_f64 v[33:34], v[31:32], v[29:30]
	v_add_f64 v[19:20], v[25:26], -v[10:11]
	v_cndmask_b32_e32 v13, 0, v17, vcc
	v_cndmask_b32_e32 v12, 0, v16, vcc
	v_add_f64 v[35:36], v[33:34], v[23:24]
	v_add_f64 v[25:26], v[35:36], -v[33:34]
	v_add_f64 v[10:11], v[19:20], v[35:36]
	v_add_f64 v[23:24], v[23:24], -v[25:26]
	v_add_f64 v[25:26], v[35:36], -v[25:26]
	v_add_f64 v[16:17], v[10:11], v[12:13]
	v_add_f64 v[19:20], v[10:11], -v[19:20]
	v_add_f64 v[25:26], v[33:34], -v[25:26]
	v_cmp_gt_f64_e32 vcc, 0, v[16:17]
	v_mov_b32_e32 v16, 0x40100000
	v_add_f64 v[19:20], v[35:36], -v[19:20]
	v_add_f64 v[23:24], v[23:24], v[25:26]
	v_add_f64 v[25:26], v[33:34], -v[31:32]
	v_cndmask_b32_e32 v56, 0, v16, vcc
	v_add_f64 v[12:13], v[12:13], v[55:56]
	v_add_f64 v[27:28], v[29:30], -v[25:26]
	v_add_f64 v[25:26], v[33:34], -v[25:26]
	v_add_f64 v[16:17], v[10:11], v[12:13]
	buffer_load_dword v29, off, s[0:3], 0 offset:72 ; 4-byte Folded Reload
	buffer_load_dword v30, off, s[0:3], 0 offset:76 ; 4-byte Folded Reload
	v_add_f64 v[25:26], v[31:32], -v[25:26]
	v_add_f64 v[25:26], v[27:28], v[25:26]
	v_add_f64 v[23:24], v[25:26], v[23:24]
	v_add_f64 v[14:15], v[14:15], v[23:24]
	v_add_f64 v[14:15], v[19:20], v[14:15]
	v_cvt_i32_f64_e32 v19, v[16:17]
	v_cvt_f64_i32_e32 v[16:17], v19
	v_add_f64 v[12:13], v[12:13], -v[16:17]
	v_add_f64 v[16:17], v[10:11], v[12:13]
	v_add_f64 v[12:13], v[16:17], -v[12:13]
	v_cmp_le_f64_e32 vcc, 0.5, v[16:17]
	v_add_f64 v[10:11], v[10:11], -v[12:13]
	v_mov_b32_e32 v12, 0x3ff00000
	v_cndmask_b32_e32 v56, 0, v12, vcc
	v_add_f64 v[12:13], v[16:17], -v[55:56]
	v_addc_co_u32_e64 v19, s[6:7], 0, v19, vcc
	v_add_f64 v[10:11], v[14:15], v[10:11]
	v_add_f64 v[14:15], v[12:13], v[10:11]
	v_add_f64 v[12:13], v[14:15], -v[12:13]
	v_add_f64 v[10:11], v[10:11], -v[12:13]
	v_mul_f64 v[12:13], v[14:15], s[86:87]
	v_fma_f64 v[16:17], v[14:15], s[86:87], -v[12:13]
	v_fma_f64 v[14:15], v[14:15], s[36:37], v[16:17]
	v_fma_f64 v[14:15], v[10:11], s[86:87], v[14:15]
	v_add_f64 v[10:11], v[12:13], v[14:15]
	v_add_f64 v[12:13], v[10:11], -v[12:13]
	v_add_f64 v[12:13], v[14:15], -v[12:13]
.LBB0_83:                               ;   in Loop: Header=BB0_34 Depth=1
	s_andn2_saveexec_b64 s[6:7], s[28:29]
	s_cbranch_execz .LBB0_85
; %bb.84:                               ;   in Loop: Header=BB0_34 Depth=1
	v_mul_f64 v[10:11], |v[0:1]|, s[38:39]
	s_mov_b32 s24, s86
	s_mov_b32 s28, s40
	;; [unrolled: 1-line block ×3, first 2 shown]
	v_rndne_f64_e32 v[14:15], v[10:11]
	v_fma_f64 v[10:11], v[14:15], s[24:25], |v[0:1]|
	v_mul_f64 v[12:13], v[14:15], s[40:41]
	v_fma_f64 v[23:24], v[14:15], s[40:41], v[10:11]
	v_add_f64 v[16:17], v[10:11], v[12:13]
	v_add_f64 v[19:20], v[10:11], -v[16:17]
	v_add_f64 v[16:17], v[16:17], -v[23:24]
	v_add_f64 v[10:11], v[19:20], v[12:13]
	v_fma_f64 v[12:13], v[14:15], s[28:29], v[12:13]
	v_cvt_i32_f64_e32 v19, v[14:15]
	v_add_f64 v[10:11], v[16:17], v[10:11]
	v_add_f64 v[10:11], v[10:11], -v[12:13]
	v_fma_f64 v[12:13], v[14:15], s[42:43], v[10:11]
	v_add_f64 v[10:11], v[23:24], v[12:13]
	v_add_f64 v[16:17], v[10:11], -v[23:24]
	v_add_f64 v[12:13], v[12:13], -v[16:17]
.LBB0_85:                               ;   in Loop: Header=BB0_34 Depth=1
	s_or_b64 exec, exec, s[6:7]
	buffer_load_dword v25, off, s[0:3], 0 offset:112 ; 4-byte Folded Reload
	buffer_load_dword v26, off, s[0:3], 0 offset:116 ; 4-byte Folded Reload
	v_mul_f64 v[16:17], v[10:11], v[10:11]
	s_mov_b32 s54, s94
	v_mul_f64 v[14:15], v[16:17], 0.5
	v_add_f64 v[20:21], -v[14:15], 1.0
	v_add_f64 v[23:24], -v[20:21], 1.0
	v_add_f64 v[14:15], v[23:24], -v[14:15]
	v_mul_f64 v[23:24], v[16:17], v[16:17]
	v_fma_f64 v[14:15], v[10:11], -v[12:13], v[14:15]
	s_waitcnt vmcnt(0)
	v_fma_f64 v[25:26], v[16:17], s[46:47], v[25:26]
	v_fma_f64 v[25:26], v[16:17], v[25:26], s[48:49]
	;; [unrolled: 1-line block ×6, first 2 shown]
	v_mul_f64 v[23:24], v[10:11], -v[16:17]
	v_mul_f64 v[25:26], v[12:13], 0.5
	v_add_f64 v[14:15], v[20:21], v[14:15]
	buffer_load_dword v20, off, s[0:3], 0 offset:120 ; 4-byte Folded Reload
	buffer_load_dword v21, off, s[0:3], 0 offset:124 ; 4-byte Folded Reload
	s_waitcnt vmcnt(0)
	v_fma_f64 v[20:21], v[16:17], s[58:59], v[20:21]
	v_fma_f64 v[20:21], v[16:17], v[20:21], s[60:61]
	v_fma_f64 v[20:21], v[16:17], v[20:21], s[62:63]
	v_fma_f64 v[20:21], v[16:17], v[20:21], s[64:65]
	v_fma_f64 v[20:21], v[23:24], v[20:21], v[25:26]
	v_fma_f64 v[12:13], v[16:17], v[20:21], -v[12:13]
	v_fma_f64 v[12:13], v[23:24], s[54:55], v[12:13]
	v_add_f64 v[10:11], v[10:11], -v[12:13]
	v_and_b32_e32 v12, 1, v19
	v_cmp_eq_u32_e32 vcc, 0, v12
	v_lshlrev_b32_e32 v12, 30, v19
	v_and_b32_e32 v12, 0x80000000, v12
	v_xor_b32_e32 v11, 0x80000000, v11
	v_cndmask_b32_e32 v10, v10, v14, vcc
	v_cndmask_b32_e32 v11, v11, v15, vcc
	v_cmp_class_f64_e64 vcc, v[0:1], s67
	v_xor_b32_e32 v11, v11, v12
                                        ; implicit-def: $vgpr14
                                        ; implicit-def: $vgpr12_vgpr13
	v_cndmask_b32_e32 v11, v61, v11, vcc
	v_cndmask_b32_e32 v10, 0, v10, vcc
	buffer_store_dword v10, off, s[0:3], 0 offset:16
	buffer_store_dword v11, off, s[0:3], 0 offset:20
                                        ; implicit-def: $vgpr10_vgpr11
	s_and_saveexec_b64 s[6:7], s[8:9]
	s_xor_b64 s[28:29], exec, s[6:7]
	s_cbranch_execz .LBB0_87
; %bb.86:                               ;   in Loop: Header=BB0_34 Depth=1
	v_cmp_ge_f64_e64 s[6:7], |v[0:1]|, s[82:83]
	v_cndmask_b32_e64 v11, v18, v9, s[6:7]
	v_cndmask_b32_e64 v10, v0, v8, s[6:7]
	v_mul_f64 v[14:15], v[6:7], v[10:11]
	v_mul_f64 v[12:13], v[4:5], v[10:11]
	v_fma_f64 v[16:17], v[6:7], v[10:11], -v[14:15]
	v_add_f64 v[18:19], v[12:13], v[16:17]
	v_add_f64 v[23:24], v[18:19], -v[12:13]
	v_add_f64 v[20:21], v[14:15], v[18:19]
	v_add_f64 v[16:17], v[16:17], -v[23:24]
	v_add_f64 v[23:24], v[18:19], -v[23:24]
	v_ldexp_f64 v[6:7], v[20:21], -2
	v_add_f64 v[23:24], v[12:13], -v[23:24]
	v_fma_f64 v[12:13], v[4:5], v[10:11], -v[12:13]
	v_add_f64 v[4:5], v[20:21], -v[14:15]
	v_fract_f64_e32 v[8:9], v[6:7]
	v_cmp_neq_f64_e64 s[6:7], |v[6:7]|, s[84:85]
	v_add_f64 v[16:17], v[16:17], v[23:24]
	v_mul_f64 v[23:24], v[2:3], v[10:11]
	v_add_f64 v[14:15], v[18:19], -v[4:5]
	v_ldexp_f64 v[8:9], v[8:9], 2
	v_add_f64 v[25:26], v[23:24], v[12:13]
	v_fma_f64 v[2:3], v[2:3], v[10:11], -v[23:24]
	v_cndmask_b32_e64 v7, 0, v9, s[6:7]
	v_cndmask_b32_e64 v6, 0, v8, s[6:7]
	v_add_f64 v[27:28], v[25:26], v[16:17]
	v_add_f64 v[4:5], v[14:15], v[27:28]
	v_add_f64 v[18:19], v[27:28], -v[25:26]
	v_add_f64 v[8:9], v[4:5], v[6:7]
	v_add_f64 v[16:17], v[16:17], -v[18:19]
	v_add_f64 v[18:19], v[27:28], -v[18:19]
	;; [unrolled: 1-line block ×3, first 2 shown]
	v_cmp_gt_f64_e64 s[6:7], 0, v[8:9]
	v_mov_b32_e32 v8, 0x40100000
	v_add_f64 v[18:19], v[25:26], -v[18:19]
	v_add_f64 v[14:15], v[27:28], -v[14:15]
	v_cndmask_b32_e64 v56, 0, v8, s[6:7]
	v_add_f64 v[6:7], v[6:7], v[55:56]
	v_add_f64 v[16:17], v[16:17], v[18:19]
	v_add_f64 v[18:19], v[25:26], -v[23:24]
	v_add_f64 v[8:9], v[4:5], v[6:7]
	v_add_f64 v[12:13], v[12:13], -v[18:19]
	v_add_f64 v[18:19], v[25:26], -v[18:19]
	v_cvt_i32_f64_e32 v10, v[8:9]
	v_add_f64 v[18:19], v[23:24], -v[18:19]
	v_cvt_f64_i32_e32 v[8:9], v10
	v_add_f64 v[6:7], v[6:7], -v[8:9]
	v_add_f64 v[12:13], v[12:13], v[18:19]
	v_add_f64 v[8:9], v[4:5], v[6:7]
	;; [unrolled: 1-line block ×3, first 2 shown]
	v_add_f64 v[6:7], v[8:9], -v[6:7]
	v_cmp_le_f64_e64 s[6:7], 0.5, v[8:9]
	v_add_f64 v[2:3], v[2:3], v[12:13]
	v_add_f64 v[4:5], v[4:5], -v[6:7]
	v_add_f64 v[2:3], v[14:15], v[2:3]
	v_addc_co_u32_e64 v14, s[8:9], 0, v10, s[6:7]
	v_add_f64 v[2:3], v[2:3], v[4:5]
	v_mov_b32_e32 v4, 0x3ff00000
	v_cndmask_b32_e64 v56, 0, v4, s[6:7]
	v_add_f64 v[4:5], v[8:9], -v[55:56]
	v_add_f64 v[6:7], v[4:5], v[2:3]
	v_add_f64 v[4:5], v[6:7], -v[4:5]
	v_add_f64 v[2:3], v[2:3], -v[4:5]
	v_mul_f64 v[4:5], v[6:7], s[86:87]
	v_fma_f64 v[8:9], v[6:7], s[86:87], -v[4:5]
	v_fma_f64 v[6:7], v[6:7], s[36:37], v[8:9]
	v_fma_f64 v[2:3], v[2:3], s[86:87], v[6:7]
	v_add_f64 v[10:11], v[4:5], v[2:3]
	v_add_f64 v[4:5], v[10:11], -v[4:5]
	v_add_f64 v[12:13], v[2:3], -v[4:5]
.LBB0_87:                               ;   in Loop: Header=BB0_34 Depth=1
	s_andn2_saveexec_b64 s[6:7], s[28:29]
	s_cbranch_execz .LBB0_89
; %bb.88:                               ;   in Loop: Header=BB0_34 Depth=1
	v_mul_f64 v[2:3], |v[0:1]|, s[38:39]
	s_mov_b32 s24, s86
	s_mov_b32 s8, s40
	;; [unrolled: 1-line block ×3, first 2 shown]
	v_rndne_f64_e32 v[2:3], v[2:3]
	v_fma_f64 v[4:5], v[2:3], s[24:25], |v[0:1]|
	v_mul_f64 v[6:7], v[2:3], s[40:41]
	v_cvt_i32_f64_e32 v14, v[2:3]
	v_add_f64 v[8:9], v[4:5], v[6:7]
	v_add_f64 v[10:11], v[4:5], -v[8:9]
	v_fma_f64 v[4:5], v[2:3], s[40:41], v[4:5]
	v_add_f64 v[10:11], v[10:11], v[6:7]
	v_add_f64 v[8:9], v[8:9], -v[4:5]
	v_fma_f64 v[6:7], v[2:3], s[8:9], v[6:7]
	;; [unrolled: 3-line block ×3, first 2 shown]
	v_add_f64 v[10:11], v[4:5], v[6:7]
	v_add_f64 v[4:5], v[10:11], -v[4:5]
	v_add_f64 v[12:13], v[6:7], -v[4:5]
.LBB0_89:                               ;   in Loop: Header=BB0_34 Depth=1
	s_or_b64 exec, exec, s[6:7]
	buffer_load_dword v15, off, s[0:3], 0 offset:112 ; 4-byte Folded Reload
	buffer_load_dword v16, off, s[0:3], 0 offset:116 ; 4-byte Folded Reload
	v_mul_f64 v[2:3], v[10:11], v[10:11]
	s_mov_b32 s54, s94
	v_and_b32_e32 v0, 1, v14
	v_cmp_eq_u32_e64 s[6:7], 0, v0
                                        ; implicit-def: $vgpr19
	v_mul_f64 v[4:5], v[2:3], 0.5
	v_add_f64 v[6:7], -v[4:5], 1.0
	v_add_f64 v[8:9], -v[6:7], 1.0
	v_add_f64 v[4:5], v[8:9], -v[4:5]
	v_mul_f64 v[8:9], v[2:3], v[2:3]
	v_fma_f64 v[4:5], v[10:11], -v[12:13], v[4:5]
	s_waitcnt vmcnt(0)
	v_fma_f64 v[15:16], v[2:3], s[46:47], v[15:16]
	v_fma_f64 v[15:16], v[2:3], v[15:16], s[48:49]
	;; [unrolled: 1-line block ×6, first 2 shown]
	v_mul_f64 v[8:9], v[10:11], -v[2:3]
	v_mul_f64 v[15:16], v[12:13], 0.5
	v_add_f64 v[4:5], v[6:7], v[4:5]
	buffer_load_dword v6, off, s[0:3], 0 offset:120 ; 4-byte Folded Reload
	buffer_load_dword v7, off, s[0:3], 0 offset:124 ; 4-byte Folded Reload
	s_waitcnt vmcnt(0)
	v_fma_f64 v[6:7], v[2:3], s[58:59], v[6:7]
	v_fma_f64 v[6:7], v[2:3], v[6:7], s[60:61]
	;; [unrolled: 1-line block ×5, first 2 shown]
	v_fma_f64 v[2:3], v[2:3], v[6:7], -v[12:13]
	v_fma_f64 v[2:3], v[8:9], s[54:55], v[2:3]
	v_add_f64 v[2:3], v[10:11], -v[2:3]
	v_cndmask_b32_e64 v0, v4, v2, s[6:7]
	v_cndmask_b32_e64 v2, v5, v3, s[6:7]
	v_lshlrev_b32_e32 v3, 30, v14
	v_xor_b32_e32 v1, v3, v1
	v_and_b32_e32 v1, 0x80000000, v1
	v_xor_b32_e32 v1, v2, v1
	v_cndmask_b32_e32 v0, 0, v0, vcc
	v_mov_b32_e32 v2, 0xfff80000
	v_cndmask_b32_e64 v1, v2, -v1, vcc
	buffer_store_dword v0, off, s[0:3], 0 offset:24
	buffer_store_dword v1, off, s[0:3], 0 offset:28
	global_load_dwordx2 v[0:1], v[46:47], off offset:16
	s_mov_b32 s6, 0
	s_mov_b32 s7, 0x40080000
	s_waitcnt vmcnt(0)
	v_mul_f64 v[2:3], v[29:30], v[0:1]
	v_mul_f64 v[4:5], v[2:3], s[6:7]
	v_fma_f64 v[2:3], -v[2:3], v[2:3], s[6:7]
	v_div_scale_f64 v[6:7], s[6:7], v[2:3], v[2:3], v[4:5]
	v_rcp_f64_e32 v[8:9], v[6:7]
	v_fma_f64 v[10:11], -v[6:7], v[8:9], 1.0
	v_fma_f64 v[8:9], v[8:9], v[10:11], v[8:9]
	v_fma_f64 v[10:11], -v[6:7], v[8:9], 1.0
	v_fma_f64 v[8:9], v[8:9], v[10:11], v[8:9]
	v_div_scale_f64 v[10:11], vcc, v[4:5], v[2:3], v[4:5]
	v_mul_f64 v[12:13], v[10:11], v[8:9]
	v_fma_f64 v[6:7], -v[6:7], v[12:13], v[10:11]
	s_nop 1
	v_div_fmas_f64 v[6:7], v[6:7], v[8:9], v[12:13]
	v_div_fixup_f64 v[2:3], v[6:7], v[2:3], v[4:5]
	v_and_b32_e32 v5, 0x7fffffff, v3
	v_mov_b32_e32 v4, v2
	v_div_scale_f64 v[6:7], s[8:9], v[4:5], v[4:5], 1.0
	v_cmp_gt_f64_e64 s[6:7], |v[2:3]|, 1.0
	s_mov_b32 s8, 0xb5e68a13
	s_mov_b32 s9, 0x3eeba404
	v_rcp_f64_e32 v[8:9], v[6:7]
	v_fma_f64 v[10:11], -v[6:7], v[8:9], 1.0
	v_fma_f64 v[8:9], v[8:9], v[10:11], v[8:9]
	v_fma_f64 v[10:11], -v[6:7], v[8:9], 1.0
	v_fma_f64 v[8:9], v[8:9], v[10:11], v[8:9]
	v_div_scale_f64 v[10:11], vcc, 1.0, v[4:5], 1.0
	v_mul_f64 v[12:13], v[10:11], v[8:9]
	v_fma_f64 v[6:7], -v[6:7], v[12:13], v[10:11]
                                        ; implicit-def: $vgpr10_vgpr11
	s_nop 1
	v_div_fmas_f64 v[6:7], v[6:7], v[8:9], v[12:13]
	buffer_load_dword v8, off, s[0:3], 0 offset:172 ; 4-byte Folded Reload
	buffer_load_dword v9, off, s[0:3], 0 offset:176 ; 4-byte Folded Reload
                                        ; implicit-def: $vgpr12_vgpr13
	v_div_fixup_f64 v[6:7], v[6:7], |v[2:3]|, 1.0
	v_cndmask_b32_e64 v5, v5, v7, s[6:7]
	v_cndmask_b32_e64 v4, v2, v6, s[6:7]
	v_mul_f64 v[6:7], v[4:5], v[4:5]
	s_waitcnt vmcnt(0)
	v_fma_f64 v[8:9], v[6:7], s[8:9], v[8:9]
	s_mov_b32 s8, 0x69efb384
	s_mov_b32 s9, 0x3f4b2bb0
	v_fma_f64 v[8:9], v[6:7], v[8:9], s[8:9]
	s_mov_b32 s8, 0xaf56de9b
	s_mov_b32 s9, 0xbf67952d
	v_fma_f64 v[8:9], v[6:7], v[8:9], s[8:9]
	s_mov_b32 s8, 0xa595c56f
	s_mov_b32 s9, 0x3f7d6d43
	v_fma_f64 v[8:9], v[6:7], v[8:9], s[8:9]
	s_mov_b32 s8, 0xa57d9582
	s_mov_b32 s9, 0xbf8c6ea4
	v_fma_f64 v[8:9], v[6:7], v[8:9], s[8:9]
	s_mov_b32 s8, 0x5f08b19f
	s_mov_b32 s9, 0x3f967e29
	v_fma_f64 v[8:9], v[6:7], v[8:9], s[8:9]
	s_mov_b32 s8, 0xfc27006a
	s_mov_b32 s9, 0xbf9e9ae6
	v_fma_f64 v[8:9], v[6:7], v[8:9], s[8:9]
	s_mov_b32 s8, 0x5711927a
	s_mov_b32 s9, 0x3fa2c15b
	v_fma_f64 v[8:9], v[6:7], v[8:9], s[8:9]
	s_mov_b32 s8, 0xe82d3ff0
	s_mov_b32 s9, 0xbfa59976
	v_fma_f64 v[8:9], v[6:7], v[8:9], s[8:9]
	s_mov_b32 s8, 0x6ef28734
	s_mov_b32 s9, 0x3fa82d5d
	v_fma_f64 v[8:9], v[6:7], v[8:9], s[8:9]
	s_mov_b32 s8, 0x6a214619
	s_mov_b32 s9, 0xbfaae5ce
	v_fma_f64 v[8:9], v[6:7], v[8:9], s[8:9]
	s_mov_b32 s8, 0x8427b883
	s_mov_b32 s9, 0x3fae1bb4
	v_fma_f64 v[8:9], v[6:7], v[8:9], s[8:9]
	s_mov_b32 s8, 0x8b207f05
	s_mov_b32 s9, 0xbfb110e4
	v_fma_f64 v[8:9], v[6:7], v[8:9], s[8:9]
	s_mov_b32 s8, 0x57b87036
	s_mov_b32 s9, 0x3fb3b136
	v_fma_f64 v[8:9], v[6:7], v[8:9], s[8:9]
	s_mov_b32 s8, 0x19378e4f
	s_mov_b32 s9, 0xbfb745d1
	v_fma_f64 v[8:9], v[6:7], v[8:9], s[8:9]
	s_mov_b32 s8, 0x17e1913c
	s_mov_b32 s9, 0x3fbc71c7
	v_fma_f64 v[8:9], v[6:7], v[8:9], s[8:9]
	s_mov_b32 s8, 0x92376b7d
	s_mov_b32 s9, 0xbfc24924
	v_fma_f64 v[8:9], v[6:7], v[8:9], s[8:9]
	s_mov_b32 s8, 0x999952cc
	s_mov_b32 s9, 0x3fc99999
	v_fma_f64 v[8:9], v[6:7], v[8:9], s[8:9]
	s_mov_b32 s8, 0x55555523
	s_mov_b32 s9, 0xbfd55555
	v_fma_f64 v[8:9], v[6:7], v[8:9], s[8:9]
	s_mov_b32 s8, 0x336a0500
	s_mov_b32 s9, 0x3fedd9ad
	v_mul_f64 v[6:7], v[6:7], v[8:9]
	v_fma_f64 v[4:5], v[4:5], v[6:7], v[4:5]
	buffer_load_dword v6, off, s[0:3], 0 offset:180 ; 4-byte Folded Reload
	buffer_load_dword v7, off, s[0:3], 0 offset:184 ; 4-byte Folded Reload
	s_waitcnt vmcnt(0)
	v_fma_f64 v[6:7], s[8:9], v[6:7], -v[4:5]
	v_cndmask_b32_e64 v2, v4, v6, s[6:7]
	v_cndmask_b32_e64 v4, v5, v7, s[6:7]
	s_brev_b32 s6, -2
	v_bfi_b32 v3, s6, v4, v3
	v_fma_f64 v[0:1], v[29:30], v[0:1], -v[2:3]
	v_add_f64 v[0:1], v[0:1], v[0:1]
	v_trig_preop_f64 v[6:7], |v[0:1]|, 0
	v_trig_preop_f64 v[4:5], |v[0:1]|, 1
	;; [unrolled: 1-line block ×3, first 2 shown]
	v_cmp_nlt_f64_e64 s[8:9], |v[0:1]|, s[80:81]
	v_ldexp_f64 v[8:9], |v[0:1]|, s13
	v_and_b32_e32 v18, 0x7fffffff, v1
	s_and_saveexec_b64 s[6:7], s[8:9]
	s_xor_b64 s[28:29], exec, s[6:7]
	s_cbranch_execz .LBB0_91
; %bb.90:                               ;   in Loop: Header=BB0_34 Depth=1
	v_cmp_ge_f64_e64 vcc, |v[0:1]|, s[82:83]
	v_cndmask_b32_e32 v15, v18, v9, vcc
	v_cndmask_b32_e32 v14, v0, v8, vcc
	v_mul_f64 v[19:20], v[6:7], v[14:15]
	v_mul_f64 v[10:11], v[4:5], v[14:15]
	;; [unrolled: 1-line block ×3, first 2 shown]
	v_fma_f64 v[23:24], v[6:7], v[14:15], -v[19:20]
	v_add_f64 v[25:26], v[10:11], v[23:24]
	v_add_f64 v[29:30], v[25:26], -v[10:11]
	v_add_f64 v[27:28], v[19:20], v[25:26]
	v_add_f64 v[23:24], v[23:24], -v[29:30]
	v_add_f64 v[29:30], v[25:26], -v[29:30]
	v_ldexp_f64 v[12:13], v[27:28], -2
	v_add_f64 v[29:30], v[10:11], -v[29:30]
	v_fract_f64_e32 v[16:17], v[12:13]
	v_cmp_neq_f64_e64 vcc, |v[12:13]|, s[84:85]
	v_add_f64 v[23:24], v[23:24], v[29:30]
	v_fma_f64 v[29:30], v[4:5], v[14:15], -v[10:11]
	v_add_f64 v[10:11], v[27:28], -v[19:20]
	v_ldexp_f64 v[16:17], v[16:17], 2
	v_fma_f64 v[14:15], v[2:3], v[14:15], -v[31:32]
	v_add_f64 v[33:34], v[31:32], v[29:30]
	v_add_f64 v[19:20], v[25:26], -v[10:11]
	v_cndmask_b32_e32 v13, 0, v17, vcc
	v_cndmask_b32_e32 v12, 0, v16, vcc
	v_add_f64 v[35:36], v[33:34], v[23:24]
	v_add_f64 v[25:26], v[35:36], -v[33:34]
	v_add_f64 v[10:11], v[19:20], v[35:36]
	v_add_f64 v[23:24], v[23:24], -v[25:26]
	v_add_f64 v[25:26], v[35:36], -v[25:26]
	v_add_f64 v[16:17], v[10:11], v[12:13]
	v_add_f64 v[19:20], v[10:11], -v[19:20]
	v_add_f64 v[25:26], v[33:34], -v[25:26]
	v_cmp_gt_f64_e32 vcc, 0, v[16:17]
	v_mov_b32_e32 v16, 0x40100000
	v_add_f64 v[19:20], v[35:36], -v[19:20]
	v_add_f64 v[23:24], v[23:24], v[25:26]
	v_add_f64 v[25:26], v[33:34], -v[31:32]
	v_cndmask_b32_e32 v56, 0, v16, vcc
	v_add_f64 v[12:13], v[12:13], v[55:56]
	v_add_f64 v[27:28], v[29:30], -v[25:26]
	v_add_f64 v[25:26], v[33:34], -v[25:26]
	v_add_f64 v[16:17], v[10:11], v[12:13]
	buffer_load_dword v29, off, s[0:3], 0 offset:72 ; 4-byte Folded Reload
	buffer_load_dword v30, off, s[0:3], 0 offset:76 ; 4-byte Folded Reload
	v_add_f64 v[25:26], v[31:32], -v[25:26]
	v_add_f64 v[25:26], v[27:28], v[25:26]
	v_add_f64 v[23:24], v[25:26], v[23:24]
	;; [unrolled: 1-line block ×4, first 2 shown]
	v_cvt_i32_f64_e32 v19, v[16:17]
	v_cvt_f64_i32_e32 v[16:17], v19
	v_add_f64 v[12:13], v[12:13], -v[16:17]
	v_add_f64 v[16:17], v[10:11], v[12:13]
	v_add_f64 v[12:13], v[16:17], -v[12:13]
	v_cmp_le_f64_e32 vcc, 0.5, v[16:17]
	v_add_f64 v[10:11], v[10:11], -v[12:13]
	v_mov_b32_e32 v12, 0x3ff00000
	v_cndmask_b32_e32 v56, 0, v12, vcc
	v_add_f64 v[12:13], v[16:17], -v[55:56]
	v_addc_co_u32_e64 v19, s[6:7], 0, v19, vcc
	v_add_f64 v[10:11], v[14:15], v[10:11]
	v_add_f64 v[14:15], v[12:13], v[10:11]
	v_add_f64 v[12:13], v[14:15], -v[12:13]
	v_add_f64 v[10:11], v[10:11], -v[12:13]
	v_mul_f64 v[12:13], v[14:15], s[86:87]
	v_fma_f64 v[16:17], v[14:15], s[86:87], -v[12:13]
	v_fma_f64 v[14:15], v[14:15], s[36:37], v[16:17]
	v_fma_f64 v[14:15], v[10:11], s[86:87], v[14:15]
	v_add_f64 v[10:11], v[12:13], v[14:15]
	v_add_f64 v[12:13], v[10:11], -v[12:13]
	v_add_f64 v[12:13], v[14:15], -v[12:13]
.LBB0_91:                               ;   in Loop: Header=BB0_34 Depth=1
	s_andn2_saveexec_b64 s[6:7], s[28:29]
	s_cbranch_execz .LBB0_93
; %bb.92:                               ;   in Loop: Header=BB0_34 Depth=1
	v_mul_f64 v[10:11], |v[0:1]|, s[38:39]
	s_mov_b32 s24, s86
	s_mov_b32 s28, s40
	;; [unrolled: 1-line block ×3, first 2 shown]
	v_rndne_f64_e32 v[14:15], v[10:11]
	v_fma_f64 v[10:11], v[14:15], s[24:25], |v[0:1]|
	v_mul_f64 v[12:13], v[14:15], s[40:41]
	v_fma_f64 v[23:24], v[14:15], s[40:41], v[10:11]
	v_add_f64 v[16:17], v[10:11], v[12:13]
	v_add_f64 v[19:20], v[10:11], -v[16:17]
	v_add_f64 v[16:17], v[16:17], -v[23:24]
	v_add_f64 v[10:11], v[19:20], v[12:13]
	v_fma_f64 v[12:13], v[14:15], s[28:29], v[12:13]
	v_cvt_i32_f64_e32 v19, v[14:15]
	v_add_f64 v[10:11], v[16:17], v[10:11]
	v_add_f64 v[10:11], v[10:11], -v[12:13]
	v_fma_f64 v[12:13], v[14:15], s[42:43], v[10:11]
	v_add_f64 v[10:11], v[23:24], v[12:13]
	v_add_f64 v[16:17], v[10:11], -v[23:24]
	v_add_f64 v[12:13], v[12:13], -v[16:17]
.LBB0_93:                               ;   in Loop: Header=BB0_34 Depth=1
	s_or_b64 exec, exec, s[6:7]
	buffer_load_dword v25, off, s[0:3], 0 offset:112 ; 4-byte Folded Reload
	buffer_load_dword v26, off, s[0:3], 0 offset:116 ; 4-byte Folded Reload
	v_mul_f64 v[16:17], v[10:11], v[10:11]
	s_mov_b32 s54, s94
	v_mul_f64 v[14:15], v[16:17], 0.5
	v_add_f64 v[20:21], -v[14:15], 1.0
	v_add_f64 v[23:24], -v[20:21], 1.0
	v_add_f64 v[14:15], v[23:24], -v[14:15]
	v_mul_f64 v[23:24], v[16:17], v[16:17]
	v_fma_f64 v[14:15], v[10:11], -v[12:13], v[14:15]
	s_waitcnt vmcnt(0)
	v_fma_f64 v[25:26], v[16:17], s[46:47], v[25:26]
	v_fma_f64 v[25:26], v[16:17], v[25:26], s[48:49]
	;; [unrolled: 1-line block ×6, first 2 shown]
	v_mul_f64 v[23:24], v[10:11], -v[16:17]
	v_mul_f64 v[25:26], v[12:13], 0.5
	v_add_f64 v[14:15], v[20:21], v[14:15]
	buffer_load_dword v20, off, s[0:3], 0 offset:120 ; 4-byte Folded Reload
	buffer_load_dword v21, off, s[0:3], 0 offset:124 ; 4-byte Folded Reload
	s_waitcnt vmcnt(0)
	v_fma_f64 v[20:21], v[16:17], s[58:59], v[20:21]
	v_fma_f64 v[20:21], v[16:17], v[20:21], s[60:61]
	;; [unrolled: 1-line block ×5, first 2 shown]
	v_fma_f64 v[12:13], v[16:17], v[20:21], -v[12:13]
	v_fma_f64 v[12:13], v[23:24], s[54:55], v[12:13]
	v_add_f64 v[10:11], v[10:11], -v[12:13]
	v_and_b32_e32 v12, 1, v19
	v_cmp_eq_u32_e32 vcc, 0, v12
	v_lshlrev_b32_e32 v12, 30, v19
	v_and_b32_e32 v12, 0x80000000, v12
	v_xor_b32_e32 v11, 0x80000000, v11
	v_cndmask_b32_e32 v10, v10, v14, vcc
	v_cndmask_b32_e32 v11, v11, v15, vcc
	v_cmp_class_f64_e64 vcc, v[0:1], s67
	v_xor_b32_e32 v11, v11, v12
                                        ; implicit-def: $vgpr14
                                        ; implicit-def: $vgpr12_vgpr13
	v_cndmask_b32_e32 v11, v61, v11, vcc
	v_cndmask_b32_e32 v10, 0, v10, vcc
	buffer_store_dword v10, off, s[0:3], 0 offset:32
	buffer_store_dword v11, off, s[0:3], 0 offset:36
                                        ; implicit-def: $vgpr10_vgpr11
	s_and_saveexec_b64 s[6:7], s[8:9]
	s_xor_b64 s[28:29], exec, s[6:7]
	s_cbranch_execz .LBB0_95
; %bb.94:                               ;   in Loop: Header=BB0_34 Depth=1
	v_cmp_ge_f64_e64 s[6:7], |v[0:1]|, s[82:83]
	v_cndmask_b32_e64 v11, v18, v9, s[6:7]
	v_cndmask_b32_e64 v10, v0, v8, s[6:7]
	v_mul_f64 v[14:15], v[6:7], v[10:11]
	v_mul_f64 v[12:13], v[4:5], v[10:11]
	v_fma_f64 v[16:17], v[6:7], v[10:11], -v[14:15]
	v_add_f64 v[18:19], v[12:13], v[16:17]
	v_add_f64 v[23:24], v[18:19], -v[12:13]
	v_add_f64 v[20:21], v[14:15], v[18:19]
	v_add_f64 v[16:17], v[16:17], -v[23:24]
	v_add_f64 v[23:24], v[18:19], -v[23:24]
	v_ldexp_f64 v[6:7], v[20:21], -2
	v_add_f64 v[23:24], v[12:13], -v[23:24]
	v_fma_f64 v[12:13], v[4:5], v[10:11], -v[12:13]
	v_add_f64 v[4:5], v[20:21], -v[14:15]
	v_fract_f64_e32 v[8:9], v[6:7]
	v_cmp_neq_f64_e64 s[6:7], |v[6:7]|, s[84:85]
	v_add_f64 v[16:17], v[16:17], v[23:24]
	v_mul_f64 v[23:24], v[2:3], v[10:11]
	v_add_f64 v[14:15], v[18:19], -v[4:5]
	v_ldexp_f64 v[8:9], v[8:9], 2
	v_add_f64 v[25:26], v[23:24], v[12:13]
	v_fma_f64 v[2:3], v[2:3], v[10:11], -v[23:24]
	v_cndmask_b32_e64 v7, 0, v9, s[6:7]
	v_cndmask_b32_e64 v6, 0, v8, s[6:7]
	v_add_f64 v[27:28], v[25:26], v[16:17]
	v_add_f64 v[4:5], v[14:15], v[27:28]
	v_add_f64 v[18:19], v[27:28], -v[25:26]
	v_add_f64 v[8:9], v[4:5], v[6:7]
	v_add_f64 v[16:17], v[16:17], -v[18:19]
	v_add_f64 v[18:19], v[27:28], -v[18:19]
	;; [unrolled: 1-line block ×3, first 2 shown]
	v_cmp_gt_f64_e64 s[6:7], 0, v[8:9]
	v_mov_b32_e32 v8, 0x40100000
	v_add_f64 v[18:19], v[25:26], -v[18:19]
	v_add_f64 v[14:15], v[27:28], -v[14:15]
	v_cndmask_b32_e64 v56, 0, v8, s[6:7]
	v_add_f64 v[6:7], v[6:7], v[55:56]
	v_add_f64 v[16:17], v[16:17], v[18:19]
	v_add_f64 v[18:19], v[25:26], -v[23:24]
	v_add_f64 v[8:9], v[4:5], v[6:7]
	v_add_f64 v[12:13], v[12:13], -v[18:19]
	v_add_f64 v[18:19], v[25:26], -v[18:19]
	v_cvt_i32_f64_e32 v10, v[8:9]
	v_add_f64 v[18:19], v[23:24], -v[18:19]
	v_cvt_f64_i32_e32 v[8:9], v10
	v_add_f64 v[6:7], v[6:7], -v[8:9]
	v_add_f64 v[12:13], v[12:13], v[18:19]
	v_add_f64 v[8:9], v[4:5], v[6:7]
	;; [unrolled: 1-line block ×3, first 2 shown]
	v_add_f64 v[6:7], v[8:9], -v[6:7]
	v_cmp_le_f64_e64 s[6:7], 0.5, v[8:9]
	v_add_f64 v[2:3], v[2:3], v[12:13]
	v_add_f64 v[4:5], v[4:5], -v[6:7]
	v_add_f64 v[2:3], v[14:15], v[2:3]
	v_addc_co_u32_e64 v14, s[8:9], 0, v10, s[6:7]
	v_add_f64 v[2:3], v[2:3], v[4:5]
	v_mov_b32_e32 v4, 0x3ff00000
	v_cndmask_b32_e64 v56, 0, v4, s[6:7]
	v_add_f64 v[4:5], v[8:9], -v[55:56]
	v_add_f64 v[6:7], v[4:5], v[2:3]
	v_add_f64 v[4:5], v[6:7], -v[4:5]
	v_add_f64 v[2:3], v[2:3], -v[4:5]
	v_mul_f64 v[4:5], v[6:7], s[86:87]
	v_fma_f64 v[8:9], v[6:7], s[86:87], -v[4:5]
	v_fma_f64 v[6:7], v[6:7], s[36:37], v[8:9]
	v_fma_f64 v[2:3], v[2:3], s[86:87], v[6:7]
	v_add_f64 v[10:11], v[4:5], v[2:3]
	v_add_f64 v[4:5], v[10:11], -v[4:5]
	v_add_f64 v[12:13], v[2:3], -v[4:5]
.LBB0_95:                               ;   in Loop: Header=BB0_34 Depth=1
	s_andn2_saveexec_b64 s[6:7], s[28:29]
	s_cbranch_execz .LBB0_97
; %bb.96:                               ;   in Loop: Header=BB0_34 Depth=1
	v_mul_f64 v[2:3], |v[0:1]|, s[38:39]
	s_mov_b32 s24, s86
	s_mov_b32 s8, s40
	;; [unrolled: 1-line block ×3, first 2 shown]
	v_rndne_f64_e32 v[2:3], v[2:3]
	v_fma_f64 v[4:5], v[2:3], s[24:25], |v[0:1]|
	v_mul_f64 v[6:7], v[2:3], s[40:41]
	v_cvt_i32_f64_e32 v14, v[2:3]
	v_add_f64 v[8:9], v[4:5], v[6:7]
	v_add_f64 v[10:11], v[4:5], -v[8:9]
	v_fma_f64 v[4:5], v[2:3], s[40:41], v[4:5]
	v_add_f64 v[10:11], v[10:11], v[6:7]
	v_add_f64 v[8:9], v[8:9], -v[4:5]
	v_fma_f64 v[6:7], v[2:3], s[8:9], v[6:7]
	;; [unrolled: 3-line block ×3, first 2 shown]
	v_add_f64 v[10:11], v[4:5], v[6:7]
	v_add_f64 v[4:5], v[10:11], -v[4:5]
	v_add_f64 v[12:13], v[6:7], -v[4:5]
.LBB0_97:                               ;   in Loop: Header=BB0_34 Depth=1
	s_or_b64 exec, exec, s[6:7]
	buffer_load_dword v15, off, s[0:3], 0 offset:112 ; 4-byte Folded Reload
	buffer_load_dword v16, off, s[0:3], 0 offset:116 ; 4-byte Folded Reload
	v_mul_f64 v[2:3], v[10:11], v[10:11]
	s_mov_b32 s54, s94
	v_and_b32_e32 v0, 1, v14
	v_cmp_eq_u32_e64 s[6:7], 0, v0
	s_mov_b32 s8, 0
	s_mov_b32 s9, 0xc0180000
                                        ; implicit-def: $vgpr19
	v_mul_f64 v[4:5], v[2:3], 0.5
	v_add_f64 v[6:7], -v[4:5], 1.0
	v_add_f64 v[8:9], -v[6:7], 1.0
	v_add_f64 v[4:5], v[8:9], -v[4:5]
	v_mul_f64 v[8:9], v[2:3], v[2:3]
	v_fma_f64 v[4:5], v[10:11], -v[12:13], v[4:5]
	s_waitcnt vmcnt(0)
	v_fma_f64 v[15:16], v[2:3], s[46:47], v[15:16]
	v_fma_f64 v[15:16], v[2:3], v[15:16], s[48:49]
	;; [unrolled: 1-line block ×6, first 2 shown]
	v_mul_f64 v[8:9], v[10:11], -v[2:3]
	v_mul_f64 v[15:16], v[12:13], 0.5
	v_add_f64 v[4:5], v[6:7], v[4:5]
	buffer_load_dword v6, off, s[0:3], 0 offset:120 ; 4-byte Folded Reload
	buffer_load_dword v7, off, s[0:3], 0 offset:124 ; 4-byte Folded Reload
	s_waitcnt vmcnt(0)
	v_fma_f64 v[6:7], v[2:3], s[58:59], v[6:7]
	v_fma_f64 v[6:7], v[2:3], v[6:7], s[60:61]
	;; [unrolled: 1-line block ×5, first 2 shown]
	v_fma_f64 v[2:3], v[2:3], v[6:7], -v[12:13]
	v_fma_f64 v[2:3], v[8:9], s[54:55], v[2:3]
	v_add_f64 v[2:3], v[10:11], -v[2:3]
	v_cndmask_b32_e64 v0, v4, v2, s[6:7]
	v_cndmask_b32_e64 v2, v5, v3, s[6:7]
	v_lshlrev_b32_e32 v3, 30, v14
	v_xor_b32_e32 v1, v3, v1
	v_and_b32_e32 v1, 0x80000000, v1
	v_xor_b32_e32 v1, v2, v1
	v_cndmask_b32_e32 v0, 0, v0, vcc
	v_mov_b32_e32 v2, 0xfff80000
	v_cndmask_b32_e64 v1, v2, -v1, vcc
	buffer_store_dword v0, off, s[0:3], 0 offset:40
	buffer_store_dword v1, off, s[0:3], 0 offset:44
	global_load_dwordx2 v[0:1], v[46:47], off offset:24
	s_mov_b32 s6, 0
	s_mov_b32 s7, 0x402e0000
	s_waitcnt vmcnt(0)
	v_mul_f64 v[2:3], v[29:30], v[0:1]
	v_fma_f64 v[4:5], -v[2:3], v[2:3], s[6:7]
	v_mul_f64 v[6:7], v[2:3], s[8:9]
	v_mul_f64 v[4:5], v[2:3], v[4:5]
	v_fma_f64 v[2:3], v[2:3], v[6:7], s[6:7]
	v_div_scale_f64 v[6:7], s[6:7], v[2:3], v[2:3], v[4:5]
	v_rcp_f64_e32 v[8:9], v[6:7]
	v_fma_f64 v[10:11], -v[6:7], v[8:9], 1.0
	v_fma_f64 v[8:9], v[8:9], v[10:11], v[8:9]
	v_fma_f64 v[10:11], -v[6:7], v[8:9], 1.0
	v_fma_f64 v[8:9], v[8:9], v[10:11], v[8:9]
	v_div_scale_f64 v[10:11], vcc, v[4:5], v[2:3], v[4:5]
	v_mul_f64 v[12:13], v[10:11], v[8:9]
	v_fma_f64 v[6:7], -v[6:7], v[12:13], v[10:11]
	s_nop 1
	v_div_fmas_f64 v[6:7], v[6:7], v[8:9], v[12:13]
	v_div_fixup_f64 v[2:3], v[6:7], v[2:3], v[4:5]
	v_and_b32_e32 v5, 0x7fffffff, v3
	v_mov_b32_e32 v4, v2
	v_div_scale_f64 v[6:7], s[8:9], v[4:5], v[4:5], 1.0
	v_cmp_gt_f64_e64 s[6:7], |v[2:3]|, 1.0
	s_mov_b32 s8, 0xb5e68a13
	s_mov_b32 s9, 0x3eeba404
	v_rcp_f64_e32 v[8:9], v[6:7]
	v_fma_f64 v[10:11], -v[6:7], v[8:9], 1.0
	v_fma_f64 v[8:9], v[8:9], v[10:11], v[8:9]
	v_fma_f64 v[10:11], -v[6:7], v[8:9], 1.0
	v_fma_f64 v[8:9], v[8:9], v[10:11], v[8:9]
	v_div_scale_f64 v[10:11], vcc, 1.0, v[4:5], 1.0
	v_mul_f64 v[12:13], v[10:11], v[8:9]
	v_fma_f64 v[6:7], -v[6:7], v[12:13], v[10:11]
                                        ; implicit-def: $vgpr10_vgpr11
	s_nop 1
	v_div_fmas_f64 v[6:7], v[6:7], v[8:9], v[12:13]
	buffer_load_dword v8, off, s[0:3], 0 offset:172 ; 4-byte Folded Reload
	buffer_load_dword v9, off, s[0:3], 0 offset:176 ; 4-byte Folded Reload
                                        ; implicit-def: $vgpr12_vgpr13
	v_div_fixup_f64 v[6:7], v[6:7], |v[2:3]|, 1.0
	v_cndmask_b32_e64 v5, v5, v7, s[6:7]
	v_cndmask_b32_e64 v4, v2, v6, s[6:7]
	v_mul_f64 v[6:7], v[4:5], v[4:5]
	s_waitcnt vmcnt(0)
	v_fma_f64 v[8:9], v[6:7], s[8:9], v[8:9]
	s_mov_b32 s8, 0x69efb384
	s_mov_b32 s9, 0x3f4b2bb0
	v_fma_f64 v[8:9], v[6:7], v[8:9], s[8:9]
	s_mov_b32 s8, 0xaf56de9b
	s_mov_b32 s9, 0xbf67952d
	;; [unrolled: 3-line block ×19, first 2 shown]
	v_mul_f64 v[6:7], v[6:7], v[8:9]
	v_fma_f64 v[4:5], v[4:5], v[6:7], v[4:5]
	buffer_load_dword v6, off, s[0:3], 0 offset:180 ; 4-byte Folded Reload
	buffer_load_dword v7, off, s[0:3], 0 offset:184 ; 4-byte Folded Reload
	s_waitcnt vmcnt(0)
	v_fma_f64 v[6:7], s[8:9], v[6:7], -v[4:5]
	v_cndmask_b32_e64 v2, v4, v6, s[6:7]
	v_cndmask_b32_e64 v4, v5, v7, s[6:7]
	s_brev_b32 s6, -2
	v_bfi_b32 v3, s6, v4, v3
	v_fma_f64 v[0:1], v[29:30], v[0:1], -v[2:3]
	v_add_f64 v[0:1], v[0:1], v[0:1]
	v_trig_preop_f64 v[6:7], |v[0:1]|, 0
	v_trig_preop_f64 v[4:5], |v[0:1]|, 1
	;; [unrolled: 1-line block ×3, first 2 shown]
	v_cmp_nlt_f64_e64 s[8:9], |v[0:1]|, s[80:81]
	v_ldexp_f64 v[8:9], |v[0:1]|, s13
	v_and_b32_e32 v18, 0x7fffffff, v1
	s_and_saveexec_b64 s[6:7], s[8:9]
	s_xor_b64 s[28:29], exec, s[6:7]
	s_cbranch_execz .LBB0_99
; %bb.98:                               ;   in Loop: Header=BB0_34 Depth=1
	v_cmp_ge_f64_e64 vcc, |v[0:1]|, s[82:83]
	v_cndmask_b32_e32 v15, v18, v9, vcc
	v_cndmask_b32_e32 v14, v0, v8, vcc
	v_mul_f64 v[19:20], v[6:7], v[14:15]
	v_mul_f64 v[10:11], v[4:5], v[14:15]
	;; [unrolled: 1-line block ×3, first 2 shown]
	v_fma_f64 v[23:24], v[6:7], v[14:15], -v[19:20]
	v_add_f64 v[25:26], v[10:11], v[23:24]
	v_add_f64 v[29:30], v[25:26], -v[10:11]
	v_add_f64 v[27:28], v[19:20], v[25:26]
	v_add_f64 v[23:24], v[23:24], -v[29:30]
	v_add_f64 v[29:30], v[25:26], -v[29:30]
	v_ldexp_f64 v[12:13], v[27:28], -2
	v_add_f64 v[29:30], v[10:11], -v[29:30]
	v_fract_f64_e32 v[16:17], v[12:13]
	v_cmp_neq_f64_e64 vcc, |v[12:13]|, s[84:85]
	v_add_f64 v[23:24], v[23:24], v[29:30]
	v_fma_f64 v[29:30], v[4:5], v[14:15], -v[10:11]
	v_add_f64 v[10:11], v[27:28], -v[19:20]
	v_ldexp_f64 v[16:17], v[16:17], 2
	v_fma_f64 v[14:15], v[2:3], v[14:15], -v[31:32]
	v_add_f64 v[33:34], v[31:32], v[29:30]
	v_add_f64 v[19:20], v[25:26], -v[10:11]
	v_cndmask_b32_e32 v13, 0, v17, vcc
	v_cndmask_b32_e32 v12, 0, v16, vcc
	v_add_f64 v[35:36], v[33:34], v[23:24]
	v_add_f64 v[25:26], v[35:36], -v[33:34]
	v_add_f64 v[10:11], v[19:20], v[35:36]
	v_add_f64 v[23:24], v[23:24], -v[25:26]
	v_add_f64 v[25:26], v[35:36], -v[25:26]
	v_add_f64 v[16:17], v[10:11], v[12:13]
	v_add_f64 v[19:20], v[10:11], -v[19:20]
	v_add_f64 v[25:26], v[33:34], -v[25:26]
	v_cmp_gt_f64_e32 vcc, 0, v[16:17]
	v_mov_b32_e32 v16, 0x40100000
	v_add_f64 v[19:20], v[35:36], -v[19:20]
	v_add_f64 v[23:24], v[23:24], v[25:26]
	v_add_f64 v[25:26], v[33:34], -v[31:32]
	v_cndmask_b32_e32 v56, 0, v16, vcc
	v_add_f64 v[12:13], v[12:13], v[55:56]
	v_add_f64 v[27:28], v[29:30], -v[25:26]
	v_add_f64 v[25:26], v[33:34], -v[25:26]
	v_add_f64 v[16:17], v[10:11], v[12:13]
	buffer_load_dword v29, off, s[0:3], 0 offset:72 ; 4-byte Folded Reload
	buffer_load_dword v30, off, s[0:3], 0 offset:76 ; 4-byte Folded Reload
	v_add_f64 v[25:26], v[31:32], -v[25:26]
	v_add_f64 v[25:26], v[27:28], v[25:26]
	v_add_f64 v[23:24], v[25:26], v[23:24]
	;; [unrolled: 1-line block ×4, first 2 shown]
	v_cvt_i32_f64_e32 v19, v[16:17]
	v_cvt_f64_i32_e32 v[16:17], v19
	v_add_f64 v[12:13], v[12:13], -v[16:17]
	v_add_f64 v[16:17], v[10:11], v[12:13]
	v_add_f64 v[12:13], v[16:17], -v[12:13]
	v_cmp_le_f64_e32 vcc, 0.5, v[16:17]
	v_add_f64 v[10:11], v[10:11], -v[12:13]
	v_mov_b32_e32 v12, 0x3ff00000
	v_cndmask_b32_e32 v56, 0, v12, vcc
	v_add_f64 v[12:13], v[16:17], -v[55:56]
	v_addc_co_u32_e64 v19, s[6:7], 0, v19, vcc
	v_add_f64 v[10:11], v[14:15], v[10:11]
	v_add_f64 v[14:15], v[12:13], v[10:11]
	v_add_f64 v[12:13], v[14:15], -v[12:13]
	v_add_f64 v[10:11], v[10:11], -v[12:13]
	v_mul_f64 v[12:13], v[14:15], s[86:87]
	v_fma_f64 v[16:17], v[14:15], s[86:87], -v[12:13]
	v_fma_f64 v[14:15], v[14:15], s[36:37], v[16:17]
	v_fma_f64 v[14:15], v[10:11], s[86:87], v[14:15]
	v_add_f64 v[10:11], v[12:13], v[14:15]
	v_add_f64 v[12:13], v[10:11], -v[12:13]
	v_add_f64 v[12:13], v[14:15], -v[12:13]
.LBB0_99:                               ;   in Loop: Header=BB0_34 Depth=1
	s_andn2_saveexec_b64 s[6:7], s[28:29]
	s_cbranch_execz .LBB0_101
; %bb.100:                              ;   in Loop: Header=BB0_34 Depth=1
	v_mul_f64 v[10:11], |v[0:1]|, s[38:39]
	s_mov_b32 s24, s86
	s_mov_b32 s28, s40
	;; [unrolled: 1-line block ×3, first 2 shown]
	v_rndne_f64_e32 v[14:15], v[10:11]
	v_fma_f64 v[10:11], v[14:15], s[24:25], |v[0:1]|
	v_mul_f64 v[12:13], v[14:15], s[40:41]
	v_fma_f64 v[23:24], v[14:15], s[40:41], v[10:11]
	v_add_f64 v[16:17], v[10:11], v[12:13]
	v_add_f64 v[19:20], v[10:11], -v[16:17]
	v_add_f64 v[16:17], v[16:17], -v[23:24]
	v_add_f64 v[10:11], v[19:20], v[12:13]
	v_fma_f64 v[12:13], v[14:15], s[28:29], v[12:13]
	v_cvt_i32_f64_e32 v19, v[14:15]
	v_add_f64 v[10:11], v[16:17], v[10:11]
	v_add_f64 v[10:11], v[10:11], -v[12:13]
	v_fma_f64 v[12:13], v[14:15], s[42:43], v[10:11]
	v_add_f64 v[10:11], v[23:24], v[12:13]
	v_add_f64 v[16:17], v[10:11], -v[23:24]
	v_add_f64 v[12:13], v[12:13], -v[16:17]
.LBB0_101:                              ;   in Loop: Header=BB0_34 Depth=1
	s_or_b64 exec, exec, s[6:7]
	buffer_load_dword v25, off, s[0:3], 0 offset:112 ; 4-byte Folded Reload
	buffer_load_dword v26, off, s[0:3], 0 offset:116 ; 4-byte Folded Reload
	v_mul_f64 v[16:17], v[10:11], v[10:11]
	s_mov_b32 s54, s94
	v_mul_f64 v[14:15], v[16:17], 0.5
	v_add_f64 v[20:21], -v[14:15], 1.0
	v_add_f64 v[23:24], -v[20:21], 1.0
	v_add_f64 v[14:15], v[23:24], -v[14:15]
	v_mul_f64 v[23:24], v[16:17], v[16:17]
	v_fma_f64 v[14:15], v[10:11], -v[12:13], v[14:15]
	s_waitcnt vmcnt(0)
	v_fma_f64 v[25:26], v[16:17], s[46:47], v[25:26]
	v_fma_f64 v[25:26], v[16:17], v[25:26], s[48:49]
	;; [unrolled: 1-line block ×6, first 2 shown]
	v_mul_f64 v[23:24], v[10:11], -v[16:17]
	v_mul_f64 v[25:26], v[12:13], 0.5
	v_add_f64 v[14:15], v[20:21], v[14:15]
	buffer_load_dword v20, off, s[0:3], 0 offset:120 ; 4-byte Folded Reload
	buffer_load_dword v21, off, s[0:3], 0 offset:124 ; 4-byte Folded Reload
	s_waitcnt vmcnt(0)
	v_fma_f64 v[20:21], v[16:17], s[58:59], v[20:21]
	v_fma_f64 v[20:21], v[16:17], v[20:21], s[60:61]
	v_fma_f64 v[20:21], v[16:17], v[20:21], s[62:63]
	v_fma_f64 v[20:21], v[16:17], v[20:21], s[64:65]
	v_fma_f64 v[20:21], v[23:24], v[20:21], v[25:26]
	v_fma_f64 v[12:13], v[16:17], v[20:21], -v[12:13]
	v_fma_f64 v[12:13], v[23:24], s[54:55], v[12:13]
	v_add_f64 v[10:11], v[10:11], -v[12:13]
	v_and_b32_e32 v12, 1, v19
	v_cmp_eq_u32_e32 vcc, 0, v12
	v_lshlrev_b32_e32 v12, 30, v19
	v_and_b32_e32 v12, 0x80000000, v12
	v_xor_b32_e32 v11, 0x80000000, v11
	v_cndmask_b32_e32 v10, v10, v14, vcc
	v_cndmask_b32_e32 v11, v11, v15, vcc
	v_cmp_class_f64_e64 vcc, v[0:1], s67
	v_xor_b32_e32 v11, v11, v12
                                        ; implicit-def: $vgpr14
                                        ; implicit-def: $vgpr12_vgpr13
	v_cndmask_b32_e32 v11, v61, v11, vcc
	v_cndmask_b32_e32 v10, 0, v10, vcc
	buffer_store_dword v10, off, s[0:3], 0 offset:48
	buffer_store_dword v11, off, s[0:3], 0 offset:52
                                        ; implicit-def: $vgpr10_vgpr11
	s_and_saveexec_b64 s[6:7], s[8:9]
	s_xor_b64 s[28:29], exec, s[6:7]
	s_cbranch_execz .LBB0_103
; %bb.102:                              ;   in Loop: Header=BB0_34 Depth=1
	v_cmp_ge_f64_e64 s[6:7], |v[0:1]|, s[82:83]
	v_cndmask_b32_e64 v11, v18, v9, s[6:7]
	v_cndmask_b32_e64 v10, v0, v8, s[6:7]
	v_mul_f64 v[14:15], v[6:7], v[10:11]
	v_mul_f64 v[12:13], v[4:5], v[10:11]
	v_fma_f64 v[16:17], v[6:7], v[10:11], -v[14:15]
	v_add_f64 v[18:19], v[12:13], v[16:17]
	v_add_f64 v[23:24], v[18:19], -v[12:13]
	v_add_f64 v[20:21], v[14:15], v[18:19]
	v_add_f64 v[16:17], v[16:17], -v[23:24]
	v_add_f64 v[23:24], v[18:19], -v[23:24]
	v_ldexp_f64 v[6:7], v[20:21], -2
	v_add_f64 v[23:24], v[12:13], -v[23:24]
	v_fma_f64 v[12:13], v[4:5], v[10:11], -v[12:13]
	v_add_f64 v[4:5], v[20:21], -v[14:15]
	v_fract_f64_e32 v[8:9], v[6:7]
	v_cmp_neq_f64_e64 s[6:7], |v[6:7]|, s[84:85]
	v_add_f64 v[16:17], v[16:17], v[23:24]
	v_mul_f64 v[23:24], v[2:3], v[10:11]
	v_add_f64 v[14:15], v[18:19], -v[4:5]
	v_ldexp_f64 v[8:9], v[8:9], 2
	v_add_f64 v[25:26], v[23:24], v[12:13]
	v_fma_f64 v[2:3], v[2:3], v[10:11], -v[23:24]
	v_cndmask_b32_e64 v7, 0, v9, s[6:7]
	v_cndmask_b32_e64 v6, 0, v8, s[6:7]
	v_add_f64 v[27:28], v[25:26], v[16:17]
	v_add_f64 v[4:5], v[14:15], v[27:28]
	v_add_f64 v[18:19], v[27:28], -v[25:26]
	v_add_f64 v[8:9], v[4:5], v[6:7]
	v_add_f64 v[16:17], v[16:17], -v[18:19]
	v_add_f64 v[18:19], v[27:28], -v[18:19]
	;; [unrolled: 1-line block ×3, first 2 shown]
	v_cmp_gt_f64_e64 s[6:7], 0, v[8:9]
	v_mov_b32_e32 v8, 0x40100000
	v_add_f64 v[18:19], v[25:26], -v[18:19]
	v_add_f64 v[14:15], v[27:28], -v[14:15]
	v_cndmask_b32_e64 v56, 0, v8, s[6:7]
	v_add_f64 v[6:7], v[6:7], v[55:56]
	v_add_f64 v[16:17], v[16:17], v[18:19]
	v_add_f64 v[18:19], v[25:26], -v[23:24]
	v_add_f64 v[8:9], v[4:5], v[6:7]
	v_add_f64 v[12:13], v[12:13], -v[18:19]
	v_add_f64 v[18:19], v[25:26], -v[18:19]
	v_cvt_i32_f64_e32 v10, v[8:9]
	v_add_f64 v[18:19], v[23:24], -v[18:19]
	v_cvt_f64_i32_e32 v[8:9], v10
	v_add_f64 v[6:7], v[6:7], -v[8:9]
	v_add_f64 v[12:13], v[12:13], v[18:19]
	v_add_f64 v[8:9], v[4:5], v[6:7]
	;; [unrolled: 1-line block ×3, first 2 shown]
	v_add_f64 v[6:7], v[8:9], -v[6:7]
	v_cmp_le_f64_e64 s[6:7], 0.5, v[8:9]
	v_add_f64 v[2:3], v[2:3], v[12:13]
	v_add_f64 v[4:5], v[4:5], -v[6:7]
	v_add_f64 v[2:3], v[14:15], v[2:3]
	v_addc_co_u32_e64 v14, s[8:9], 0, v10, s[6:7]
	v_add_f64 v[2:3], v[2:3], v[4:5]
	v_mov_b32_e32 v4, 0x3ff00000
	v_cndmask_b32_e64 v56, 0, v4, s[6:7]
	v_add_f64 v[4:5], v[8:9], -v[55:56]
	v_add_f64 v[6:7], v[4:5], v[2:3]
	v_add_f64 v[4:5], v[6:7], -v[4:5]
	v_add_f64 v[2:3], v[2:3], -v[4:5]
	v_mul_f64 v[4:5], v[6:7], s[86:87]
	v_fma_f64 v[8:9], v[6:7], s[86:87], -v[4:5]
	v_fma_f64 v[6:7], v[6:7], s[36:37], v[8:9]
	v_fma_f64 v[2:3], v[2:3], s[86:87], v[6:7]
	v_add_f64 v[10:11], v[4:5], v[2:3]
	v_add_f64 v[4:5], v[10:11], -v[4:5]
	v_add_f64 v[12:13], v[2:3], -v[4:5]
.LBB0_103:                              ;   in Loop: Header=BB0_34 Depth=1
	s_andn2_saveexec_b64 s[6:7], s[28:29]
	s_cbranch_execz .LBB0_105
; %bb.104:                              ;   in Loop: Header=BB0_34 Depth=1
	v_mul_f64 v[2:3], |v[0:1]|, s[38:39]
	s_mov_b32 s24, s86
	s_mov_b32 s8, s40
	;; [unrolled: 1-line block ×3, first 2 shown]
	v_rndne_f64_e32 v[2:3], v[2:3]
	v_fma_f64 v[4:5], v[2:3], s[24:25], |v[0:1]|
	v_mul_f64 v[6:7], v[2:3], s[40:41]
	v_cvt_i32_f64_e32 v14, v[2:3]
	v_add_f64 v[8:9], v[4:5], v[6:7]
	v_add_f64 v[10:11], v[4:5], -v[8:9]
	v_fma_f64 v[4:5], v[2:3], s[40:41], v[4:5]
	v_add_f64 v[10:11], v[10:11], v[6:7]
	v_add_f64 v[8:9], v[8:9], -v[4:5]
	v_fma_f64 v[6:7], v[2:3], s[8:9], v[6:7]
	;; [unrolled: 3-line block ×3, first 2 shown]
	v_add_f64 v[10:11], v[4:5], v[6:7]
	v_add_f64 v[4:5], v[10:11], -v[4:5]
	v_add_f64 v[12:13], v[6:7], -v[4:5]
.LBB0_105:                              ;   in Loop: Header=BB0_34 Depth=1
	s_or_b64 exec, exec, s[6:7]
	buffer_load_dword v15, off, s[0:3], 0 offset:112 ; 4-byte Folded Reload
	buffer_load_dword v16, off, s[0:3], 0 offset:116 ; 4-byte Folded Reload
	v_mul_f64 v[2:3], v[10:11], v[10:11]
	s_mov_b32 s54, s94
	v_and_b32_e32 v0, 1, v14
	v_cmp_eq_u32_e64 s[6:7], 0, v0
	v_mul_f64 v[4:5], v[2:3], 0.5
	v_add_f64 v[6:7], -v[4:5], 1.0
	v_add_f64 v[8:9], -v[6:7], 1.0
	v_add_f64 v[4:5], v[8:9], -v[4:5]
	v_mul_f64 v[8:9], v[2:3], v[2:3]
	v_fma_f64 v[4:5], v[10:11], -v[12:13], v[4:5]
	s_waitcnt vmcnt(0)
	v_fma_f64 v[15:16], v[2:3], s[46:47], v[15:16]
	v_fma_f64 v[15:16], v[2:3], v[15:16], s[48:49]
	;; [unrolled: 1-line block ×6, first 2 shown]
	v_mul_f64 v[8:9], v[10:11], -v[2:3]
	v_mul_f64 v[15:16], v[12:13], 0.5
	v_add_f64 v[4:5], v[6:7], v[4:5]
	buffer_load_dword v6, off, s[0:3], 0 offset:120 ; 4-byte Folded Reload
	buffer_load_dword v7, off, s[0:3], 0 offset:124 ; 4-byte Folded Reload
	s_waitcnt vmcnt(0)
	v_fma_f64 v[6:7], v[2:3], s[58:59], v[6:7]
	v_fma_f64 v[6:7], v[2:3], v[6:7], s[60:61]
	;; [unrolled: 1-line block ×5, first 2 shown]
	v_fma_f64 v[2:3], v[2:3], v[6:7], -v[12:13]
	v_fma_f64 v[2:3], v[8:9], s[54:55], v[2:3]
	v_add_f64 v[2:3], v[10:11], -v[2:3]
	v_cndmask_b32_e64 v0, v4, v2, s[6:7]
	v_cndmask_b32_e64 v2, v5, v3, s[6:7]
	v_lshlrev_b32_e32 v3, 30, v14
	v_xor_b32_e32 v1, v3, v1
	v_and_b32_e32 v1, 0x80000000, v1
	v_xor_b32_e32 v1, v2, v1
	v_mov_b32_e32 v2, 0xfff80000
	v_cndmask_b32_e32 v0, 0, v0, vcc
	v_cndmask_b32_e64 v1, v2, -v1, vcc
	buffer_store_dword v0, off, s[0:3], 0 offset:56
	buffer_store_dword v1, off, s[0:3], 0 offset:60
	v_mad_u64_u32 v[0:1], s[6:7], v44, s27, v[45:46]
	v_cndmask_b32_e64 v1, 0, 1, s[4:5]
	v_sub_u32_e32 v0, v0, v1
	v_ashrrev_i32_e32 v1, 31, v0
	v_lshlrev_b64 v[0:1], 5, v[0:1]
	v_add_co_u32_e32 v4, vcc, s20, v0
	v_mov_b32_e32 v0, s21
	v_addc_co_u32_e32 v5, vcc, v0, v1, vcc
	global_load_dwordx4 v[0:3], v[4:5], off offset:16
	s_nop 0
	global_load_dwordx4 v[4:7], v[4:5], off
	s_waitcnt vmcnt(1)
	v_mul_f64 v[0:1], v[40:41], v[0:1]
	s_waitcnt vmcnt(0)
	v_mul_f64 v[48:49], v[40:41], v[4:5]
	v_mul_f64 v[50:51], v[40:41], v[6:7]
	v_cmp_lt_i32_e32 vcc, v2, v3
	s_and_saveexec_b64 s[8:9], vcc
	s_cbranch_execz .LBB0_32
; %bb.106:                              ;   in Loop: Header=BB0_34 Depth=1
	v_readlane_b32 s4, v63, 0
	v_mul_lo_u32 v27, v44, s4
	s_mov_b64 s[96:97], 0
	v_readlane_b32 s5, v63, 1
	buffer_store_dword v59, off, s[0:3], 0 offset:220 ; 4-byte Folded Spill
	s_nop 0
	buffer_store_dword v60, off, s[0:3], 0 offset:224 ; 4-byte Folded Spill
	buffer_store_dword v57, off, s[0:3], 0 offset:212 ; 4-byte Folded Spill
	s_nop 0
	buffer_store_dword v58, off, s[0:3], 0 offset:216 ; 4-byte Folded Spill
	;; [unrolled: 3-line block ×3, first 2 shown]
	buffer_store_dword v27, off, s[0:3], 0 offset:160 ; 4-byte Folded Spill
	s_branch .LBB0_108
.LBB0_107:                              ;   in Loop: Header=BB0_108 Depth=2
	s_or_b64 exec, exec, s[98:99]
	v_mov_b32_e32 v5, 0
	s_waitcnt vmcnt(0)
	v_bfe_i32 v4, v32, 0, 16
	v_lshl_add_u32 v7, v4, 4, v5
	buffer_load_dword v4, v7, s[0:3], 0 offen
	buffer_load_dword v5, v7, s[0:3], 0 offen offset:4
	buffer_load_dword v6, v7, s[0:3], 0 offen offset:8
	s_nop 0
	buffer_load_dword v7, v7, s[0:3], 0 offen offset:12
	s_nop 0
	buffer_load_dword v10, off, s[0:3], 0 offset:96 ; 4-byte Folded Reload
	buffer_load_dword v11, off, s[0:3], 0 offset:100 ; 4-byte Folded Reload
	;; [unrolled: 1-line block ×4, first 2 shown]
	v_add_u32_e32 v2, 1, v2
	v_cmp_ge_i32_e32 vcc, v2, v3
	s_or_b64 s[96:97], vcc, s[96:97]
	s_waitcnt vmcnt(4)
	v_mul_f64 v[8:9], v[16:17], v[6:7]
	v_mul_f64 v[6:7], v[23:24], v[6:7]
	v_fma_f64 v[8:9], v[23:24], v[4:5], -v[8:9]
	v_fma_f64 v[4:5], v[16:17], v[4:5], v[6:7]
	s_waitcnt vmcnt(0)
	v_mul_f64 v[4:5], v[12:13], v[4:5]
	v_fma_f64 v[4:5], v[10:11], v[8:9], -v[4:5]
	buffer_load_dword v6, off, s[0:3], 0 offset:80 ; 4-byte Folded Reload
	buffer_load_dword v7, off, s[0:3], 0 offset:84 ; 4-byte Folded Reload
	buffer_load_dword v8, off, s[0:3], 0 offset:88 ; 4-byte Folded Reload
	buffer_load_dword v9, off, s[0:3], 0 offset:92 ; 4-byte Folded Reload
	v_add_f64 v[48:49], v[48:49], v[4:5]
	s_waitcnt vmcnt(0)
	v_mul_f64 v[4:5], v[8:9], v[16:17]
	v_fma_f64 v[4:5], v[6:7], v[23:24], -v[4:5]
	v_add_f64 v[50:51], v[50:51], v[4:5]
	v_mul_f64 v[4:5], v[38:39], v[16:17]
	v_fma_f64 v[4:5], v[36:37], v[23:24], -v[4:5]
	v_add_f64 v[0:1], v[0:1], v[4:5]
	s_andn2_b64 exec, exec, s[96:97]
	s_cbranch_execz .LBB0_31
.LBB0_108:                              ;   Parent Loop BB0_34 Depth=1
                                        ; =>  This Loop Header: Depth=2
                                        ;       Child Loop BB0_120 Depth 3
	v_mov_b32_e32 v4, s22
	v_add_u32_e32 v6, v2, v27
	v_mov_b32_e32 v5, s23
	v_mad_i64_i32 v[16:17], s[4:5], v6, s66, v[4:5]
	s_mov_b32 s4, 0
	global_load_dwordx4 v[4:7], v[16:17], off
	global_load_dwordx4 v[8:11], v[16:17], off offset:16
	s_mov_b32 s5, 0x40180000
	s_waitcnt vmcnt(0)
	buffer_store_dword v8, off, s[0:3], 0 offset:96 ; 4-byte Folded Spill
	s_nop 0
	buffer_store_dword v9, off, s[0:3], 0 offset:100 ; 4-byte Folded Spill
	buffer_store_dword v10, off, s[0:3], 0 offset:104 ; 4-byte Folded Spill
	buffer_store_dword v11, off, s[0:3], 0 offset:108 ; 4-byte Folded Spill
	v_add_f64 v[6:7], -v[6:7], 0
	v_add_f64 v[4:5], v[40:41], -v[4:5]
	v_mul_f64 v[8:9], v[6:7], 0.5
	v_mul_f64 v[6:7], v[6:7], 0
	v_fma_f64 v[46:47], v[4:5], 0, v[8:9]
	v_fma_f64 v[44:45], v[4:5], 0.5, -v[6:7]
	v_mul_f64 v[18:19], v[46:47], v[46:47]
	v_fma_f64 v[4:5], v[44:45], v[44:45], v[18:19]
	v_cmp_gt_f64_e32 vcc, s[34:35], v[4:5]
	v_cndmask_b32_e32 v6, 0, v42, vcc
	v_ldexp_f64 v[20:21], v[4:5], v6
	global_load_dwordx4 v[36:39], v[16:17], off offset:48
	global_load_dwordx4 v[4:7], v[16:17], off offset:32
	s_waitcnt vmcnt(0)
	buffer_store_dword v4, off, s[0:3], 0 offset:80 ; 4-byte Folded Spill
	s_nop 0
	buffer_store_dword v5, off, s[0:3], 0 offset:84 ; 4-byte Folded Spill
	buffer_store_dword v6, off, s[0:3], 0 offset:88 ; 4-byte Folded Spill
	;; [unrolled: 1-line block ×3, first 2 shown]
	v_rsq_f64_e32 v[23:24], v[20:21]
	global_load_ushort v32, v[16:17], off offset:64
	v_cndmask_b32_e32 v4, 0, v52, vcc
	v_cmp_class_f64_e32 vcc, v[20:21], v53
	v_mul_f64 v[16:17], v[20:21], v[23:24]
	v_mul_f64 v[23:24], v[23:24], 0.5
	v_fma_f64 v[25:26], -v[23:24], v[16:17], 0.5
	v_fma_f64 v[16:17], v[16:17], v[25:26], v[16:17]
	v_fma_f64 v[23:24], v[23:24], v[25:26], v[23:24]
	v_fma_f64 v[25:26], -v[16:17], v[16:17], v[20:21]
	v_fma_f64 v[16:17], v[25:26], v[23:24], v[16:17]
	v_fma_f64 v[25:26], -v[16:17], v[16:17], v[20:21]
	v_fma_f64 v[16:17], v[25:26], v[23:24], v[16:17]
	v_mul_f64 v[23:24], v[44:45], v[44:45]
	v_mul_f64 v[25:26], v[44:45], v[46:47]
	v_ldexp_f64 v[16:17], v[16:17], v4
	v_add_f64 v[56:57], v[23:24], -v[18:19]
	v_add_f64 v[58:59], v[25:26], v[25:26]
                                        ; implicit-def: $vgpr23_vgpr24
	v_cndmask_b32_e32 v17, v17, v21, vcc
	v_cndmask_b32_e32 v16, v16, v20, vcc
	v_cmp_ngt_f64_e32 vcc, s[4:5], v[16:17]
                                        ; implicit-def: $vgpr16_vgpr17
	s_and_saveexec_b64 s[4:5], vcc
	s_xor_b64 s[4:5], exec, s[4:5]
	s_cbranch_execz .LBB0_110
; %bb.109:                              ;   in Loop: Header=BB0_108 Depth=2
	v_add_f64 v[4:5], v[56:57], s[68:69]
	v_mul_f64 v[25:26], v[58:59], v[58:59]
	v_mul_f64 v[20:21], v[58:59], 0
	v_fma_f64 v[18:19], v[44:45], 0, -v[46:47]
	v_fma_f64 v[16:17], v[46:47], 0, v[44:45]
                                        ; implicit-def: $vgpr46_vgpr47
                                        ; implicit-def: $vgpr44_vgpr45
	v_fma_f64 v[6:7], v[4:5], v[4:5], v[25:26]
	v_fma_f64 v[8:9], v[4:5], s[70:71], v[20:21]
	v_div_scale_f64 v[10:11], s[6:7], v[6:7], v[6:7], v[8:9]
	v_rcp_f64_e32 v[12:13], v[10:11]
	v_fma_f64 v[14:15], -v[10:11], v[12:13], 1.0
	v_fma_f64 v[12:13], v[12:13], v[14:15], v[12:13]
	v_fma_f64 v[14:15], -v[10:11], v[12:13], 1.0
	v_fma_f64 v[12:13], v[12:13], v[14:15], v[12:13]
	v_div_scale_f64 v[14:15], vcc, v[8:9], v[6:7], v[8:9]
	v_mul_f64 v[22:23], v[14:15], v[12:13]
	v_fma_f64 v[10:11], -v[10:11], v[22:23], v[14:15]
	s_nop 1
	v_div_fmas_f64 v[10:11], v[10:11], v[12:13], v[22:23]
	v_div_fixup_f64 v[23:24], v[10:11], v[6:7], v[8:9]
	v_mul_f64 v[8:9], v[58:59], s[70:71]
	v_fma_f64 v[4:5], v[4:5], 0, -v[8:9]
	v_div_scale_f64 v[8:9], s[6:7], v[6:7], v[6:7], v[4:5]
	v_rcp_f64_e32 v[10:11], v[8:9]
	v_fma_f64 v[12:13], -v[8:9], v[10:11], 1.0
	v_fma_f64 v[10:11], v[10:11], v[12:13], v[10:11]
	v_fma_f64 v[12:13], -v[8:9], v[10:11], 1.0
	v_fma_f64 v[10:11], v[10:11], v[12:13], v[10:11]
	v_div_scale_f64 v[12:13], vcc, v[4:5], v[6:7], v[4:5]
	v_mul_f64 v[14:15], v[12:13], v[10:11]
	v_fma_f64 v[8:9], -v[8:9], v[14:15], v[12:13]
	s_nop 1
	v_div_fmas_f64 v[8:9], v[8:9], v[10:11], v[14:15]
	v_div_fixup_f64 v[28:29], v[8:9], v[6:7], v[4:5]
	v_add_f64 v[4:5], v[56:57], s[72:73]
                                        ; implicit-def: $vgpr56_vgpr57
	v_fma_f64 v[30:31], v[4:5], v[4:5], v[25:26]
	v_fma_f64 v[6:7], v[4:5], s[74:75], v[20:21]
	v_div_scale_f64 v[8:9], s[6:7], v[30:31], v[30:31], v[6:7]
	v_rcp_f64_e32 v[10:11], v[8:9]
	v_fma_f64 v[12:13], -v[8:9], v[10:11], 1.0
	v_fma_f64 v[10:11], v[10:11], v[12:13], v[10:11]
	v_fma_f64 v[12:13], -v[8:9], v[10:11], 1.0
	v_fma_f64 v[10:11], v[10:11], v[12:13], v[10:11]
	v_div_scale_f64 v[12:13], vcc, v[6:7], v[30:31], v[6:7]
	v_mul_f64 v[14:15], v[12:13], v[10:11]
	v_fma_f64 v[8:9], -v[8:9], v[14:15], v[12:13]
	s_nop 1
	v_div_fmas_f64 v[8:9], v[8:9], v[10:11], v[14:15]
	v_div_fixup_f64 v[34:35], v[8:9], v[30:31], v[6:7]
	v_mul_f64 v[6:7], v[58:59], s[74:75]
                                        ; implicit-def: $vgpr58_vgpr59
	v_fma_f64 v[25:26], v[4:5], 0, -v[6:7]
	v_div_scale_f64 v[4:5], s[6:7], v[30:31], v[30:31], v[25:26]
	v_rcp_f64_e32 v[6:7], v[4:5]
	v_fma_f64 v[8:9], -v[4:5], v[6:7], 1.0
	v_fma_f64 v[6:7], v[6:7], v[8:9], v[6:7]
	v_fma_f64 v[8:9], -v[4:5], v[6:7], 1.0
	v_fma_f64 v[6:7], v[6:7], v[8:9], v[6:7]
	v_div_scale_f64 v[8:9], vcc, v[25:26], v[30:31], v[25:26]
	v_mul_f64 v[10:11], v[8:9], v[6:7]
	v_fma_f64 v[4:5], -v[4:5], v[10:11], v[8:9]
	s_nop 1
	v_div_fmas_f64 v[4:5], v[4:5], v[6:7], v[10:11]
	v_add_f64 v[6:7], v[23:24], v[34:35]
	v_div_fixup_f64 v[4:5], v[4:5], v[30:31], v[25:26]
	v_add_f64 v[4:5], v[28:29], v[4:5]
	buffer_load_dword v29, off, s[0:3], 0 offset:72 ; 4-byte Folded Reload
	buffer_load_dword v30, off, s[0:3], 0 offset:76 ; 4-byte Folded Reload
	v_mul_f64 v[8:9], v[16:17], v[4:5]
	v_mul_f64 v[4:5], v[18:19], v[4:5]
	v_fma_f64 v[23:24], v[18:19], v[6:7], -v[8:9]
	v_fma_f64 v[16:17], v[16:17], v[6:7], v[4:5]
.LBB0_110:                              ;   in Loop: Header=BB0_108 Depth=2
	s_andn2_saveexec_b64 s[98:99], s[4:5]
	s_cbranch_execz .LBB0_107
; %bb.111:                              ;   in Loop: Header=BB0_108 Depth=2
	v_mul_f64 v[4:5], v[46:47], 0
	v_mov_b32_e32 v12, v55
	s_waitcnt vmcnt(0)
	buffer_store_dword v32, off, s[0:3], 0 offset:152 ; 4-byte Folded Spill
	buffer_store_dword v36, off, s[0:3], 0 offset:136 ; 4-byte Folded Spill
	s_nop 0
	buffer_store_dword v37, off, s[0:3], 0 offset:140 ; 4-byte Folded Spill
	buffer_store_dword v38, off, s[0:3], 0 offset:144 ; 4-byte Folded Spill
	;; [unrolled: 1-line block ×3, first 2 shown]
                                        ; implicit-def: $vgpr38_vgpr39
                                        ; implicit-def: $vgpr40_vgpr41
	v_fma_f64 v[54:55], v[44:45], s[90:91], v[4:5]
                                        ; implicit-def: $vgpr4
                                        ; kill: killed $vgpr4
	v_trig_preop_f64 v[30:31], |v[54:55]|, 0
	v_trig_preop_f64 v[42:43], |v[54:55]|, 1
	;; [unrolled: 1-line block ×3, first 2 shown]
	v_cmp_lt_f64_e64 vcc, |v[54:55]|, s[80:81]
	v_cmp_nlt_f64_e64 s[30:31], |v[54:55]|, s[80:81]
	v_ldexp_f64 v[24:25], |v[54:55]|, s13
	v_and_b32_e32 v11, 0x7fffffff, v55
	s_and_saveexec_b64 s[4:5], s[30:31]
	s_xor_b64 s[28:29], exec, s[4:5]
	s_cbranch_execz .LBB0_113
; %bb.112:                              ;   in Loop: Header=BB0_108 Depth=2
	v_trig_preop_f64 v[16:17], |v[54:55]|, 0
	v_cmp_ge_f64_e64 s[4:5], |v[54:55]|, s[82:83]
	v_ldexp_f64 v[26:27], |v[54:55]|, s13
	v_trig_preop_f64 v[20:21], |v[54:55]|, 1
	v_mov_b32_e32 v9, v12
	v_cndmask_b32_e64 v27, v11, v27, s[4:5]
	v_cndmask_b32_e64 v26, v54, v26, s[4:5]
	v_mul_f64 v[34:35], v[16:17], v[26:27]
	v_mul_f64 v[28:29], v[20:21], v[26:27]
	v_fma_f64 v[37:38], v[16:17], v[26:27], -v[34:35]
	v_fma_f64 v[20:21], v[20:21], v[26:27], -v[28:29]
	v_add_f64 v[39:40], v[28:29], v[37:38]
	v_add_f64 v[60:61], v[39:40], -v[28:29]
	v_add_f64 v[52:53], v[34:35], v[39:40]
	v_add_f64 v[37:38], v[37:38], -v[60:61]
	v_add_f64 v[60:61], v[39:40], -v[60:61]
	v_ldexp_f64 v[16:17], v[52:53], -2
	v_add_f64 v[60:61], v[28:29], -v[60:61]
	v_add_f64 v[28:29], v[52:53], -v[34:35]
	v_fract_f64_e32 v[32:33], v[16:17]
	v_cmp_neq_f64_e64 s[4:5], |v[16:17]|, s[84:85]
	v_add_f64 v[37:38], v[37:38], v[60:61]
	v_trig_preop_f64 v[60:61], |v[54:55]|, 2
	v_add_f64 v[34:35], v[39:40], -v[28:29]
	v_mul_f64 v[22:23], v[60:61], v[26:27]
	v_add_f64 v[4:5], v[22:23], v[20:21]
	v_add_f64 v[6:7], v[4:5], v[37:38]
	;; [unrolled: 1-line block ×3, first 2 shown]
	v_add_f64 v[39:40], v[6:7], -v[4:5]
	v_add_f64 v[34:35], v[28:29], -v[34:35]
	v_add_f64 v[37:38], v[37:38], -v[39:40]
	v_add_f64 v[34:35], v[6:7], -v[34:35]
	v_add_f64 v[6:7], v[6:7], -v[39:40]
	v_add_f64 v[6:7], v[4:5], -v[6:7]
	v_add_f64 v[6:7], v[37:38], v[6:7]
	v_add_f64 v[37:38], v[4:5], -v[22:23]
	v_add_f64 v[4:5], v[4:5], -v[37:38]
	;; [unrolled: 1-line block ×4, first 2 shown]
	v_add_f64 v[4:5], v[20:21], v[4:5]
	v_add_f64 v[4:5], v[4:5], v[6:7]
	v_fma_f64 v[6:7], v[60:61], v[26:27], -v[22:23]
	v_add_f64 v[4:5], v[6:7], v[4:5]
	v_add_f64 v[26:27], v[34:35], v[4:5]
	v_ldexp_f64 v[4:5], v[32:33], 2
	v_cndmask_b32_e64 v5, 0, v5, s[4:5]
	v_cndmask_b32_e64 v4, 0, v4, s[4:5]
	v_add_f64 v[6:7], v[28:29], v[4:5]
	v_cmp_gt_f64_e64 s[4:5], 0, v[6:7]
	v_mov_b32_e32 v6, 0x40100000
	v_cndmask_b32_e64 v10, 0, v6, s[4:5]
	v_add_f64 v[4:5], v[4:5], v[9:10]
	v_add_f64 v[6:7], v[28:29], v[4:5]
	v_cvt_i32_f64_e32 v8, v[6:7]
	v_cvt_f64_i32_e32 v[6:7], v8
	v_add_f64 v[4:5], v[4:5], -v[6:7]
	v_add_f64 v[6:7], v[28:29], v[4:5]
	v_add_f64 v[4:5], v[6:7], -v[4:5]
	v_cmp_le_f64_e64 s[4:5], 0.5, v[6:7]
	v_add_f64 v[4:5], v[28:29], -v[4:5]
	v_addc_co_u32_e64 v8, s[6:7], 0, v8, s[4:5]
	buffer_store_dword v8, off, s[0:3], 0 offset:156 ; 4-byte Folded Spill
	v_mov_b32_e32 v8, 0x3ff00000
	v_cndmask_b32_e64 v10, 0, v8, s[4:5]
	v_add_f64 v[6:7], v[6:7], -v[9:10]
	v_add_f64 v[4:5], v[26:27], v[4:5]
	v_add_f64 v[16:17], v[6:7], v[4:5]
	v_add_f64 v[6:7], v[16:17], -v[6:7]
	v_add_f64 v[4:5], v[4:5], -v[6:7]
	v_mul_f64 v[6:7], v[16:17], s[86:87]
	v_fma_f64 v[20:21], v[16:17], s[86:87], -v[6:7]
	v_fma_f64 v[16:17], v[16:17], s[36:37], v[20:21]
	v_fma_f64 v[4:5], v[4:5], s[86:87], v[16:17]
	v_add_f64 v[38:39], v[6:7], v[4:5]
	v_add_f64 v[6:7], v[38:39], -v[6:7]
	v_add_f64 v[40:41], v[4:5], -v[6:7]
	s_andn2_saveexec_b64 s[4:5], s[28:29]
	s_cbranch_execz .LBB0_115
	s_branch .LBB0_114
.LBB0_113:                              ;   in Loop: Header=BB0_108 Depth=2
	s_andn2_saveexec_b64 s[4:5], s[28:29]
	s_cbranch_execz .LBB0_115
.LBB0_114:                              ;   in Loop: Header=BB0_108 Depth=2
	v_mul_f64 v[16:17], |v[54:55]|, s[38:39]
	s_mov_b32 s24, s86
	s_mov_b32 s6, s40
	s_mov_b32 s7, s37
	v_rndne_f64_e32 v[16:17], v[16:17]
	v_fma_f64 v[20:21], v[16:17], s[24:25], |v[54:55]|
	v_mul_f64 v[26:27], v[16:17], s[40:41]
	v_cvt_i32_f64_e32 v4, v[16:17]
	buffer_store_dword v4, off, s[0:3], 0 offset:156 ; 4-byte Folded Spill
	v_add_f64 v[28:29], v[20:21], v[26:27]
	v_add_f64 v[32:33], v[20:21], -v[28:29]
	v_fma_f64 v[20:21], v[16:17], s[40:41], v[20:21]
	v_add_f64 v[32:33], v[32:33], v[26:27]
	v_add_f64 v[28:29], v[28:29], -v[20:21]
	v_fma_f64 v[26:27], v[16:17], s[6:7], v[26:27]
	v_add_f64 v[28:29], v[28:29], v[32:33]
	v_add_f64 v[26:27], v[28:29], -v[26:27]
	v_fma_f64 v[26:27], v[16:17], s[42:43], v[26:27]
	v_add_f64 v[38:39], v[20:21], v[26:27]
	v_add_f64 v[20:21], v[38:39], -v[20:21]
	v_add_f64 v[40:41], v[26:27], -v[20:21]
.LBB0_115:                              ;   in Loop: Header=BB0_108 Depth=2
	s_or_b64 exec, exec, s[4:5]
                                        ; implicit-def: $vgpr62
                                        ; implicit-def: $vgpr34_vgpr35
                                        ; implicit-def: $vgpr28_vgpr29
                                        ; implicit-def: $vgpr60_vgpr61
                                        ; implicit-def: $vgpr16_vgpr17
                                        ; implicit-def: $vgpr20
	s_and_saveexec_b64 s[4:5], s[30:31]
	s_xor_b64 s[30:31], exec, s[4:5]
	s_cbranch_execz .LBB0_117
; %bb.116:                              ;   in Loop: Header=BB0_108 Depth=2
	v_trig_preop_f64 v[30:31], |v[54:55]|, 0
	v_cmp_ge_f64_e64 s[4:5], |v[54:55]|, s[82:83]
	v_ldexp_f64 v[24:25], |v[54:55]|, s13
	v_trig_preop_f64 v[42:43], |v[54:55]|, 1
	v_mov_b32_e32 v9, v12
	s_mov_b32 s24, s86
	v_cndmask_b32_e64 v5, v11, v25, s[4:5]
	v_cndmask_b32_e64 v4, v54, v24, s[4:5]
	v_mul_f64 v[20:21], v[30:31], v[4:5]
	v_mul_f64 v[6:7], v[42:43], v[4:5]
	v_fma_f64 v[18:19], v[30:31], v[4:5], -v[20:21]
	v_add_f64 v[22:23], v[6:7], v[18:19]
	v_add_f64 v[32:33], v[22:23], -v[6:7]
	v_add_f64 v[26:27], v[20:21], v[22:23]
	v_add_f64 v[18:19], v[18:19], -v[32:33]
	v_add_f64 v[32:33], v[22:23], -v[32:33]
	v_add_f64 v[20:21], v[26:27], -v[20:21]
	v_ldexp_f64 v[16:17], v[26:27], -2
	v_add_f64 v[32:33], v[6:7], -v[32:33]
	v_fma_f64 v[6:7], v[42:43], v[4:5], -v[6:7]
	v_add_f64 v[20:21], v[22:23], -v[20:21]
	v_fract_f64_e32 v[28:29], v[16:17]
	v_cmp_neq_f64_e64 s[4:5], |v[16:17]|, s[84:85]
	v_add_f64 v[32:33], v[18:19], v[32:33]
	v_trig_preop_f64 v[18:19], |v[54:55]|, 2
	v_mul_f64 v[34:35], v[18:19], v[4:5]
	v_add_f64 v[60:61], v[34:35], v[6:7]
	v_fma_f64 v[4:5], v[18:19], v[4:5], -v[34:35]
	v_add_f64 v[36:37], v[60:61], v[32:33]
	v_add_f64 v[22:23], v[36:37], -v[60:61]
	v_add_f64 v[26:27], v[20:21], v[36:37]
	v_add_f64 v[32:33], v[32:33], -v[22:23]
	v_add_f64 v[22:23], v[36:37], -v[22:23]
	;; [unrolled: 1-line block ×5, first 2 shown]
	v_add_f64 v[22:23], v[32:33], v[22:23]
	v_add_f64 v[32:33], v[60:61], -v[34:35]
	v_add_f64 v[6:7], v[6:7], -v[32:33]
	;; [unrolled: 1-line block ×4, first 2 shown]
	v_add_f64 v[6:7], v[6:7], v[32:33]
	v_add_f64 v[6:7], v[6:7], v[22:23]
	;; [unrolled: 1-line block ×4, first 2 shown]
	v_ldexp_f64 v[4:5], v[28:29], 2
	v_cndmask_b32_e64 v5, 0, v5, s[4:5]
	v_cndmask_b32_e64 v4, 0, v4, s[4:5]
	v_add_f64 v[6:7], v[26:27], v[4:5]
	v_cmp_gt_f64_e64 s[4:5], 0, v[6:7]
	v_mov_b32_e32 v6, 0x40100000
	v_cndmask_b32_e64 v10, 0, v6, s[4:5]
	v_add_f64 v[4:5], v[4:5], v[9:10]
	v_add_f64 v[6:7], v[26:27], v[4:5]
	v_cvt_i32_f64_e32 v8, v[6:7]
	v_cvt_f64_i32_e32 v[6:7], v8
	v_add_f64 v[4:5], v[4:5], -v[6:7]
	v_add_f64 v[6:7], v[26:27], v[4:5]
	v_add_f64 v[4:5], v[6:7], -v[4:5]
	v_cmp_le_f64_e64 s[4:5], 0.5, v[6:7]
	v_add_f64 v[4:5], v[26:27], -v[4:5]
	v_addc_co_u32_e64 v62, s[6:7], 0, v8, s[4:5]
	v_mov_b32_e32 v8, 0x3ff00000
	v_cndmask_b32_e64 v10, 0, v8, s[4:5]
	v_add_f64 v[6:7], v[6:7], -v[9:10]
	s_mov_b32 s4, s40
	s_mov_b32 s5, s37
	v_add_f64 v[4:5], v[20:21], v[4:5]
	v_add_f64 v[16:17], v[6:7], v[4:5]
	v_add_f64 v[6:7], v[16:17], -v[6:7]
	v_add_f64 v[4:5], v[4:5], -v[6:7]
	v_mul_f64 v[6:7], v[16:17], s[86:87]
	v_fma_f64 v[20:21], v[16:17], s[86:87], -v[6:7]
	v_fma_f64 v[16:17], v[16:17], s[36:37], v[20:21]
	v_fma_f64 v[4:5], v[4:5], s[86:87], v[16:17]
	v_add_f64 v[34:35], v[6:7], v[4:5]
	v_add_f64 v[6:7], v[34:35], -v[6:7]
	v_add_f64 v[28:29], v[4:5], -v[6:7]
	v_mul_f64 v[4:5], |v[54:55]|, s[38:39]
	v_rndne_f64_e32 v[26:27], v[4:5]
	v_fma_f64 v[4:5], v[26:27], s[24:25], |v[54:55]|
	v_mul_f64 v[16:17], v[26:27], s[40:41]
	v_fma_f64 v[6:7], v[26:27], s[40:41], v[4:5]
	v_add_f64 v[22:23], v[4:5], v[16:17]
	v_fma_f64 v[20:21], v[26:27], s[4:5], v[16:17]
	v_add_f64 v[4:5], v[4:5], -v[22:23]
	v_add_f64 v[4:5], v[4:5], v[16:17]
	v_add_f64 v[16:17], v[22:23], -v[6:7]
	v_add_f64 v[4:5], v[16:17], v[4:5]
	v_add_f64 v[4:5], v[4:5], -v[20:21]
	v_cvt_i32_f64_e32 v20, v[26:27]
	v_fma_f64 v[4:5], v[26:27], s[42:43], v[4:5]
	v_add_f64 v[60:61], v[6:7], v[4:5]
	v_add_f64 v[6:7], v[60:61], -v[6:7]
	v_add_f64 v[16:17], v[4:5], -v[6:7]
	s_andn2_saveexec_b64 s[4:5], s[30:31]
	s_cbranch_execnz .LBB0_118
	s_branch .LBB0_119
.LBB0_117:                              ;   in Loop: Header=BB0_108 Depth=2
	s_andn2_saveexec_b64 s[4:5], s[30:31]
	s_cbranch_execz .LBB0_119
.LBB0_118:                              ;   in Loop: Header=BB0_108 Depth=2
	v_mul_f64 v[4:5], |v[54:55]|, s[38:39]
	s_mov_b32 s24, s86
	s_mov_b32 s6, s40
	s_mov_b32 s7, s37
	v_rndne_f64_e32 v[4:5], v[4:5]
	v_fma_f64 v[6:7], v[4:5], s[24:25], |v[54:55]|
	v_mul_f64 v[16:17], v[4:5], s[40:41]
	v_fma_f64 v[22:23], v[4:5], s[40:41], v[6:7]
	v_add_f64 v[20:21], v[6:7], v[16:17]
	v_add_f64 v[6:7], v[6:7], -v[20:21]
	v_add_f64 v[20:21], v[20:21], -v[22:23]
	v_add_f64 v[6:7], v[6:7], v[16:17]
	v_fma_f64 v[16:17], v[4:5], s[6:7], v[16:17]
	v_add_f64 v[6:7], v[20:21], v[6:7]
	v_cvt_i32_f64_e32 v20, v[4:5]
	v_mov_b32_e32 v62, v20
	v_add_f64 v[6:7], v[6:7], -v[16:17]
	v_fma_f64 v[6:7], v[4:5], s[42:43], v[6:7]
	v_add_f64 v[60:61], v[22:23], v[6:7]
	v_add_f64 v[16:17], v[60:61], -v[22:23]
	v_mov_b32_e32 v34, v60
	v_mov_b32_e32 v35, v61
	v_add_f64 v[16:17], v[6:7], -v[16:17]
	v_mov_b32_e32 v29, v17
	v_mov_b32_e32 v28, v16
.LBB0_119:                              ;   in Loop: Header=BB0_108 Depth=2
	s_or_b64 exec, exec, s[4:5]
	v_cmp_ge_f64_e64 s[4:5], |v[54:55]|, s[82:83]
	v_mov_b32_e32 v13, 0x40100000
	s_mov_b32 s54, s94
	v_cndmask_b32_e64 v5, v11, v25, s[4:5]
	v_cndmask_b32_e64 v4, v54, v24, s[4:5]
	v_mul_f64 v[6:7], v[4:5], v[30:31]
	v_mul_f64 v[21:22], v[42:43], v[4:5]
	;; [unrolled: 1-line block ×3, first 2 shown]
	v_fma_f64 v[23:24], v[30:31], v[4:5], -v[6:7]
	v_fma_f64 v[42:43], v[42:43], v[4:5], -v[21:22]
	;; [unrolled: 1-line block ×3, first 2 shown]
	v_add_f64 v[25:26], v[21:22], v[23:24]
	v_add_f64 v[30:31], v[25:26], -v[21:22]
	v_add_f64 v[8:9], v[6:7], v[25:26]
	v_add_f64 v[32:33], v[25:26], -v[30:31]
	v_add_f64 v[10:11], v[23:24], -v[30:31]
	v_ldexp_f64 v[30:31], v[8:9], -2
	v_add_f64 v[23:24], v[36:37], v[42:43]
	v_add_f64 v[6:7], v[8:9], -v[6:7]
	v_add_f64 v[21:22], v[21:22], -v[32:33]
	v_cmp_neq_f64_e64 s[4:5], |v[30:31]|, s[84:85]
	v_add_f64 v[6:7], v[25:26], -v[6:7]
	v_add_f64 v[8:9], v[10:11], v[21:22]
	v_fract_f64_e32 v[10:11], v[30:31]
	v_add_f64 v[25:26], v[23:24], v[8:9]
	v_ldexp_f64 v[10:11], v[10:11], 2
	v_add_f64 v[30:31], v[6:7], v[25:26]
	v_cndmask_b32_e64 v11, 0, v11, s[4:5]
	v_cndmask_b32_e64 v10, 0, v10, s[4:5]
	v_add_f64 v[32:33], v[25:26], -v[23:24]
	v_add_f64 v[21:22], v[30:31], v[10:11]
	v_add_f64 v[6:7], v[30:31], -v[6:7]
	v_add_f64 v[8:9], v[8:9], -v[32:33]
	v_cmp_gt_f64_e64 s[4:5], 0, v[21:22]
	v_add_f64 v[21:22], v[23:24], -v[36:37]
	v_add_f64 v[6:7], v[25:26], -v[6:7]
	v_cndmask_b32_e64 v13, 0, v13, s[4:5]
	v_add_f64 v[10:11], v[10:11], v[12:13]
	v_add_f64 v[52:53], v[23:24], -v[21:22]
	v_add_f64 v[14:15], v[42:43], -v[21:22]
	;; [unrolled: 1-line block ×3, first 2 shown]
	s_mov_b32 s4, 0
	s_mov_b32 s5, 0x3f300000
	v_add_f64 v[42:43], v[30:31], v[10:11]
	v_add_f64 v[52:53], v[36:37], -v[52:53]
	v_add_f64 v[22:23], v[23:24], -v[21:22]
	v_cvt_i32_f64_e32 v21, v[42:43]
	v_add_f64 v[13:14], v[14:15], v[52:53]
	v_mul_f64 v[42:43], v[46:47], s[90:91]
	v_add_f64 v[8:9], v[8:9], v[22:23]
	v_cvt_f64_i32_e32 v[32:33], v21
	v_add_f64 v[10:11], v[10:11], -v[32:33]
	v_add_f64 v[8:9], v[13:14], v[8:9]
	v_add_f64 v[14:15], v[30:31], v[10:11]
	;; [unrolled: 1-line block ×3, first 2 shown]
	v_add_f64 v[8:9], v[14:15], -v[10:11]
	v_cmp_le_f64_e64 s[6:7], 0.5, v[14:15]
	v_fma_f64 v[10:11], v[44:45], 0, -v[42:43]
	v_add_f64 v[4:5], v[6:7], v[4:5]
	v_add_f64 v[6:7], v[30:31], -v[8:9]
	v_mov_b32_e32 v8, 0x3ff00000
	v_cndmask_b32_e64 v13, 0, v8, s[6:7]
	v_mov_b32_e32 v8, v12
	buffer_store_dword v8, off, s[0:3], 0 offset:128 ; 4-byte Folded Spill
	s_nop 0
	buffer_store_dword v9, off, s[0:3], 0 offset:132 ; 4-byte Folded Spill
	v_add_f64 v[8:9], v[14:15], -v[12:13]
	v_fma_f64 v[10:11], v[10:11], s[4:5], 1.0
	v_cmp_class_f64_e64 s[4:5], v[54:55], s67
	v_add_f64 v[4:5], v[4:5], v[6:7]
	v_mul_f64 v[10:11], v[10:11], v[10:11]
	v_add_f64 v[6:7], v[8:9], v[4:5]
	v_mul_f64 v[12:13], v[6:7], s[86:87]
	v_add_f64 v[8:9], v[6:7], -v[8:9]
	v_fma_f64 v[14:15], v[6:7], s[86:87], -v[12:13]
	v_add_f64 v[4:5], v[4:5], -v[8:9]
	v_mul_f64 v[8:9], v[10:11], v[10:11]
	v_fma_f64 v[6:7], v[6:7], s[36:37], v[14:15]
	buffer_load_dword v14, off, s[0:3], 0 offset:120 ; 4-byte Folded Reload
	buffer_load_dword v15, off, s[0:3], 0 offset:124 ; 4-byte Folded Reload
	v_fma_f64 v[4:5], v[4:5], s[86:87], v[6:7]
	v_mul_f64 v[6:7], v[8:9], v[8:9]
	v_add_f64 v[8:9], v[12:13], v[4:5]
	v_mul_f64 v[6:7], v[6:7], v[6:7]
	v_cndmask_b32_e32 v19, v9, v61, vcc
	v_cndmask_b32_e32 v18, v8, v60, vcc
	v_add_f64 v[8:9], v[8:9], -v[12:13]
	buffer_load_dword v12, off, s[0:3], 0 offset:112 ; 4-byte Folded Reload
	buffer_load_dword v13, off, s[0:3], 0 offset:116 ; 4-byte Folded Reload
	v_mul_f64 v[10:11], v[18:19], v[18:19]
	v_mul_f64 v[6:7], v[6:7], v[6:7]
	v_add_f64 v[4:5], v[4:5], -v[8:9]
	v_mul_f64 v[22:23], v[10:11], 0.5
	v_mul_f64 v[6:7], v[6:7], v[6:7]
	v_mul_f64 v[24:25], v[18:19], -v[10:11]
	v_cndmask_b32_e32 v5, v5, v17, vcc
	v_cndmask_b32_e32 v4, v4, v16, vcc
	v_mul_f64 v[16:17], v[4:5], 0.5
	v_mul_f64 v[6:7], v[6:7], v[6:7]
	v_mul_f64 v[6:7], v[6:7], v[6:7]
	v_mul_f64 v[6:7], v[6:7], v[6:7]
	v_mul_f64 v[6:7], v[6:7], v[6:7]
	v_mul_f64 v[6:7], v[6:7], v[6:7]
	s_waitcnt vmcnt(2)
	v_fma_f64 v[14:15], v[10:11], s[58:59], v[14:15]
	v_mul_f64 v[30:31], v[6:7], v[6:7]
	v_fma_f64 v[14:15], v[10:11], v[14:15], s[60:61]
	v_fma_f64 v[14:15], v[10:11], v[14:15], s[62:63]
	;; [unrolled: 1-line block ×3, first 2 shown]
	s_waitcnt vmcnt(0)
	v_fma_f64 v[12:13], v[10:11], s[46:47], v[12:13]
	v_fma_f64 v[14:15], v[24:25], v[14:15], v[16:17]
	v_mul_f64 v[16:17], v[58:59], s[92:93]
	v_fma_f64 v[8:9], v[10:11], v[12:13], s[48:49]
	v_add_f64 v[12:13], -v[22:23], 1.0
	v_fma_f64 v[8:9], v[10:11], v[8:9], s[50:51]
	v_add_f64 v[26:27], -v[12:13], 1.0
	v_fma_f64 v[8:9], v[10:11], v[8:9], s[52:53]
	v_add_f64 v[22:23], v[26:27], -v[22:23]
	v_mul_f64 v[26:27], v[10:11], v[10:11]
	v_fma_f64 v[8:9], v[10:11], v[8:9], s[94:95]
	v_fma_f64 v[22:23], v[18:19], -v[4:5], v[22:23]
	v_fma_f64 v[4:5], v[10:11], v[14:15], -v[4:5]
	v_fma_f64 v[10:11], v[56:57], 0, v[16:17]
	v_mul_f64 v[14:15], v[58:59], 0
	v_fma_f64 v[8:9], v[26:27], v[8:9], v[22:23]
	v_fma_f64 v[4:5], v[24:25], s[54:55], v[4:5]
	v_add_f64 v[58:59], -v[10:11], 0
	v_addc_co_u32_e64 v10, s[6:7], 0, v21, s[6:7]
	v_fma_f64 v[56:57], v[56:57], s[92:93], -v[14:15]
	v_mov_b32_e32 v23, 0
	v_mov_b32_e32 v24, 0
	v_add_f64 v[6:7], v[12:13], v[8:9]
	v_add_f64 v[4:5], v[18:19], -v[4:5]
	v_cndmask_b32_e32 v8, v10, v20, vcc
	v_and_b32_e32 v9, 1, v8
	v_lshlrev_b32_e32 v8, 30, v8
	v_cmp_eq_u32_e32 vcc, 0, v9
	v_xor_b32_e32 v9, v8, v55
	v_and_b32_e32 v12, 0x80000000, v8
	v_and_b32_e32 v8, 0x80000000, v9
	v_cndmask_b32_e32 v10, v7, v5, vcc
	v_cndmask_b32_e32 v9, v6, v4, vcc
	v_xor_b32_e32 v10, v10, v8
	v_mov_b32_e32 v13, 0x7ff80000
	v_cndmask_b32_e64 v8, 0, v9, s[4:5]
	v_cndmask_b32_e64 v9, v13, v10, s[4:5]
	v_mul_f64 v[10:11], v[30:31], v[8:9]
	v_mul_f64 v[8:9], v[8:9], 0
	v_xor_b32_e32 v5, 0x80000000, v5
	v_cndmask_b32_e32 v5, v5, v7, vcc
	v_cndmask_b32_e32 v4, v4, v6, vcc
	v_xor_b32_e32 v5, v5, v12
	v_cndmask_b32_e64 v4, 0, v4, s[4:5]
	v_cndmask_b32_e64 v5, v13, v5, s[4:5]
	v_fma_f64 v[16:17], v[4:5], 0, v[10:11]
	v_fma_f64 v[60:61], v[30:31], v[4:5], -v[8:9]
	v_mov_b32_e32 v18, 0
	v_mov_b32_e32 v19, 0
	s_mov_b64 s[6:7], 0
.LBB0_120:                              ;   Parent Loop BB0_34 Depth=1
                                        ;     Parent Loop BB0_108 Depth=2
                                        ; =>    This Inner Loop Header: Depth=3
	s_getpc_b64 s[28:29]
	s_add_u32 s28, s28, __const._Z14fast_nuclear_W9RSComplex.neg_1n@rel32@lo+4
	s_addc_u32 s29, s29, __const._Z14fast_nuclear_W9RSComplex.neg_1n@rel32@hi+12
	v_mul_f64 v[4:5], v[16:17], 0
	v_mul_f64 v[6:7], v[60:61], 0
	s_add_u32 s28, s28, s6
	s_addc_u32 s29, s29, s7
	s_load_dwordx2 s[28:29], s[28:29], 0x0
	s_waitcnt lgkmcnt(0)
	v_fma_f64 v[4:5], v[60:61], s[28:29], -v[4:5]
	v_fma_f64 v[32:33], v[16:17], s[28:29], v[6:7]
	s_getpc_b64 s[28:29]
	s_add_u32 s28, s28, __const._Z14fast_nuclear_W9RSComplex.denominator_left@rel32@lo+4
	s_addc_u32 s29, s29, __const._Z14fast_nuclear_W9RSComplex.denominator_left@rel32@hi+12
	s_add_u32 s28, s28, s6
	s_addc_u32 s29, s29, s7
	s_load_dwordx2 s[28:29], s[28:29], 0x0
	v_mul_f64 v[6:7], v[58:59], v[58:59]
	v_add_f64 v[20:21], v[4:5], -1.0
	s_waitcnt lgkmcnt(0)
	v_add_f64 v[4:5], s[28:29], -v[56:57]
	s_getpc_b64 s[28:29]
	s_add_u32 s28, s28, __const._Z14fast_nuclear_W9RSComplex.an@rel32@lo+4
	s_addc_u32 s29, s29, __const._Z14fast_nuclear_W9RSComplex.an@rel32@hi+12
	s_add_u32 s28, s28, s6
	s_addc_u32 s29, s29, s7
	s_load_dwordx2 s[28:29], s[28:29], 0x0
	s_add_u32 s6, s6, 8
	s_addc_u32 s7, s7, 0
	s_cmpk_eq_i32 s6, 0x50
	v_fma_f64 v[36:37], v[4:5], v[4:5], v[6:7]
	v_mul_f64 v[6:7], v[4:5], v[20:21]
	v_fma_f64 v[6:7], v[58:59], v[32:33], v[6:7]
	v_div_scale_f64 v[8:9], s[30:31], v[36:37], v[36:37], v[6:7]
	v_rcp_f64_e32 v[10:11], v[8:9]
	v_fma_f64 v[12:13], -v[8:9], v[10:11], 1.0
	v_fma_f64 v[10:11], v[10:11], v[12:13], v[10:11]
	v_fma_f64 v[12:13], -v[8:9], v[10:11], 1.0
	v_fma_f64 v[10:11], v[10:11], v[12:13], v[10:11]
	v_div_scale_f64 v[12:13], vcc, v[6:7], v[36:37], v[6:7]
	v_mul_f64 v[14:15], v[12:13], v[10:11]
	v_fma_f64 v[8:9], -v[8:9], v[14:15], v[12:13]
	s_nop 1
	v_div_fmas_f64 v[8:9], v[8:9], v[10:11], v[14:15]
	v_div_fixup_f64 v[25:26], v[8:9], v[36:37], v[6:7]
	v_mul_f64 v[6:7], v[58:59], v[20:21]
	v_fma_f64 v[4:5], v[4:5], v[32:33], -v[6:7]
	v_div_scale_f64 v[6:7], s[30:31], v[36:37], v[36:37], v[4:5]
	v_rcp_f64_e32 v[8:9], v[6:7]
	v_fma_f64 v[10:11], -v[6:7], v[8:9], 1.0
	v_fma_f64 v[8:9], v[8:9], v[10:11], v[8:9]
	v_fma_f64 v[10:11], -v[6:7], v[8:9], 1.0
	v_fma_f64 v[8:9], v[8:9], v[10:11], v[8:9]
	v_div_scale_f64 v[10:11], vcc, v[4:5], v[36:37], v[4:5]
	v_mul_f64 v[12:13], v[10:11], v[8:9]
	v_fma_f64 v[6:7], -v[6:7], v[12:13], v[10:11]
	s_nop 1
	v_div_fmas_f64 v[6:7], v[6:7], v[8:9], v[12:13]
	v_div_fixup_f64 v[4:5], v[6:7], v[36:37], v[4:5]
	v_mul_f64 v[6:7], v[4:5], 0
	s_waitcnt lgkmcnt(0)
	v_mul_f64 v[4:5], s[28:29], v[4:5]
	v_fma_f64 v[6:7], s[28:29], v[25:26], -v[6:7]
	v_fma_f64 v[4:5], v[25:26], 0, v[4:5]
	v_add_f64 v[23:24], v[23:24], v[6:7]
	v_add_f64 v[18:19], v[18:19], v[4:5]
	s_cbranch_scc0 .LBB0_120
; %bb.121:                              ;   in Loop: Header=BB0_108 Depth=2
	buffer_load_dword v20, off, s[0:3], 0 offset:156 ; 4-byte Folded Reload
	v_mov_b32_e32 v59, s45
	v_mov_b32_e32 v58, s44
	;; [unrolled: 1-line block ×4, first 2 shown]
	s_mov_b32 s54, s94
	v_mul_f64 v[56:57], v[34:35], v[34:35]
	v_mov_b32_e32 v61, 0x7ff80000
	v_mov_b32_e32 v52, 0xffffff80
	;; [unrolled: 1-line block ×3, first 2 shown]
	s_waitcnt vmcnt(0)
	v_and_b32_e32 v4, 1, v20
	v_cmp_eq_u32_e32 vcc, 0, v4
	v_mul_f64 v[4:5], v[38:39], v[38:39]
	v_mul_f64 v[6:7], v[4:5], 0.5
	v_fma_f64 v[12:13], v[4:5], s[46:47], v[58:59]
	v_mul_f64 v[10:11], v[4:5], v[4:5]
	v_add_f64 v[8:9], -v[6:7], 1.0
	v_fma_f64 v[12:13], v[4:5], v[12:13], s[48:49]
	v_add_f64 v[14:15], -v[8:9], 1.0
	v_fma_f64 v[12:13], v[4:5], v[12:13], s[50:51]
	v_add_f64 v[6:7], v[14:15], -v[6:7]
	v_fma_f64 v[12:13], v[4:5], v[12:13], s[52:53]
	v_mul_f64 v[14:15], v[46:47], 0
	v_fma_f64 v[6:7], v[38:39], -v[40:41], v[6:7]
	v_fma_f64 v[12:13], v[4:5], v[12:13], s[94:95]
	v_fma_f64 v[6:7], v[10:11], v[12:13], v[6:7]
	;; [unrolled: 1-line block ×3, first 2 shown]
	v_mul_f64 v[12:13], v[40:41], 0.5
	v_add_f64 v[6:7], v[8:9], v[6:7]
	v_fma_f64 v[10:11], v[4:5], v[10:11], s[60:61]
	v_mul_f64 v[8:9], v[38:39], -v[4:5]
	v_fma_f64 v[10:11], v[4:5], v[10:11], s[62:63]
	v_fma_f64 v[10:11], v[4:5], v[10:11], s[64:65]
	;; [unrolled: 1-line block ×3, first 2 shown]
	v_mov_b32_e32 v12, 0x7ff80000
	v_fma_f64 v[4:5], v[4:5], v[10:11], -v[40:41]
	v_fma_f64 v[10:11], v[56:57], s[46:47], v[58:59]
	v_fma_f64 v[4:5], v[8:9], s[54:55], v[4:5]
	;; [unrolled: 1-line block ×3, first 2 shown]
	v_add_f64 v[4:5], v[38:39], -v[4:5]
	v_fma_f64 v[10:11], v[56:57], v[10:11], s[50:51]
	v_xor_b32_e32 v5, 0x80000000, v5
	v_cndmask_b32_e32 v4, v4, v6, vcc
	v_lshlrev_b32_e32 v6, 30, v20
	v_cndmask_b32_e32 v5, v5, v7, vcc
	v_and_b32_e32 v6, 0x80000000, v6
	v_xor_b32_e32 v5, v5, v6
	v_cndmask_b32_e64 v38, 0, v4, s[4:5]
	v_cndmask_b32_e64 v39, v12, v5, s[4:5]
	v_mul_f64 v[4:5], v[56:57], 0.5
	v_fma_f64 v[10:11], v[56:57], v[10:11], s[52:53]
	v_add_f64 v[6:7], -v[4:5], 1.0
	v_fma_f64 v[10:11], v[56:57], v[10:11], s[94:95]
	v_add_f64 v[8:9], -v[6:7], 1.0
	v_add_f64 v[4:5], v[8:9], -v[4:5]
	v_mul_f64 v[8:9], v[56:57], v[56:57]
	v_fma_f64 v[4:5], v[34:35], -v[28:29], v[4:5]
	v_fma_f64 v[4:5], v[8:9], v[10:11], v[4:5]
	v_mul_f64 v[10:11], v[44:45], 0
	v_add_f64 v[40:41], v[6:7], v[4:5]
	v_fma_f64 v[4:5], v[56:57], s[58:59], v[16:17]
	v_mul_f64 v[16:17], v[34:35], -v[56:57]
	v_mul_f64 v[6:7], v[28:29], 0.5
	v_add_f64 v[10:11], v[10:11], v[42:43]
	v_mov_b32_e32 v42, 0x100
	v_fma_f64 v[4:5], v[56:57], v[4:5], s[60:61]
	v_fma_f64 v[4:5], v[56:57], v[4:5], s[62:63]
	;; [unrolled: 1-line block ×4, first 2 shown]
	v_and_b32_e32 v6, 1, v62
	v_cmp_eq_u32_e32 vcc, 0, v6
	v_lshlrev_b32_e32 v6, 30, v62
	v_xor_b32_e32 v6, v6, v55
	v_and_b32_e32 v6, 0x80000000, v6
	v_fma_f64 v[4:5], v[56:57], v[4:5], -v[28:29]
	v_fma_f64 v[4:5], v[16:17], s[54:55], v[4:5]
	v_add_f64 v[4:5], v[34:35], -v[4:5]
	v_cndmask_b32_e32 v5, v41, v5, vcc
	v_cndmask_b32_e32 v4, v40, v4, vcc
	v_xor_b32_e32 v5, v5, v6
	v_cndmask_b32_e64 v4, 0, v4, s[4:5]
	v_cndmask_b32_e64 v5, v12, v5, s[4:5]
	v_mul_f64 v[6:7], v[30:31], v[38:39]
	v_mul_f64 v[8:9], v[30:31], v[4:5]
	buffer_load_dword v40, off, s[0:3], 0 offset:164 ; 4-byte Folded Reload
	buffer_load_dword v41, off, s[0:3], 0 offset:168 ; 4-byte Folded Reload
	v_fma_f64 v[4:5], v[4:5], 0, -v[6:7]
	v_fma_f64 v[8:9], v[38:39], 0, v[8:9]
	buffer_load_dword v55, off, s[0:3], 0 offset:128 ; 4-byte Folded Reload
	buffer_load_dword v56, off, s[0:3], 0 offset:132 ; 4-byte Folded Reload
	buffer_load_dword v29, off, s[0:3], 0 offset:72 ; 4-byte Folded Reload
	buffer_load_dword v30, off, s[0:3], 0 offset:76 ; 4-byte Folded Reload
	buffer_load_dword v27, off, s[0:3], 0 offset:160 ; 4-byte Folded Reload
	buffer_load_dword v36, off, s[0:3], 0 offset:136 ; 4-byte Folded Reload
	buffer_load_dword v37, off, s[0:3], 0 offset:140 ; 4-byte Folded Reload
	buffer_load_dword v38, off, s[0:3], 0 offset:144 ; 4-byte Folded Reload
	buffer_load_dword v39, off, s[0:3], 0 offset:148 ; 4-byte Folded Reload
	buffer_load_dword v32, off, s[0:3], 0 offset:152 ; 4-byte Folded Reload
	v_add_f64 v[4:5], v[4:5], 1.0
	v_add_f64 v[6:7], -v[8:9], 0
	v_fma_f64 v[8:9], v[6:7], 0, v[4:5]
	v_fma_f64 v[4:5], v[4:5], 0, -v[6:7]
	v_mul_f64 v[6:7], v[44:45], s[90:91]
	v_mul_f64 v[12:13], v[10:11], v[8:9]
	v_add_f64 v[6:7], v[6:7], -v[14:15]
	v_fma_f64 v[12:13], v[6:7], v[4:5], v[12:13]
	v_mul_f64 v[4:5], v[10:11], v[4:5]
	v_mul_f64 v[10:11], v[10:11], v[10:11]
	v_fma_f64 v[20:21], v[6:7], v[8:9], -v[4:5]
	v_fma_f64 v[4:5], v[6:7], v[6:7], v[10:11]
	v_div_scale_f64 v[6:7], s[4:5], v[4:5], v[4:5], v[12:13]
	v_rcp_f64_e32 v[8:9], v[6:7]
	v_fma_f64 v[10:11], -v[6:7], v[8:9], 1.0
	v_fma_f64 v[8:9], v[8:9], v[10:11], v[8:9]
	v_fma_f64 v[10:11], -v[6:7], v[8:9], 1.0
	v_fma_f64 v[8:9], v[8:9], v[10:11], v[8:9]
	v_div_scale_f64 v[10:11], vcc, v[12:13], v[4:5], v[12:13]
	v_mul_f64 v[14:15], v[10:11], v[8:9]
	v_fma_f64 v[6:7], -v[6:7], v[14:15], v[10:11]
	s_nop 1
	v_div_fmas_f64 v[6:7], v[6:7], v[8:9], v[14:15]
	v_div_fixup_f64 v[16:17], v[6:7], v[4:5], v[12:13]
	v_div_scale_f64 v[6:7], s[4:5], v[4:5], v[4:5], v[20:21]
	v_rcp_f64_e32 v[8:9], v[6:7]
	v_fma_f64 v[10:11], -v[6:7], v[8:9], 1.0
	v_fma_f64 v[8:9], v[8:9], v[10:11], v[8:9]
	v_fma_f64 v[10:11], -v[6:7], v[8:9], 1.0
	v_fma_f64 v[8:9], v[8:9], v[10:11], v[8:9]
	v_div_scale_f64 v[10:11], vcc, v[20:21], v[4:5], v[20:21]
	v_mul_f64 v[12:13], v[10:11], v[8:9]
	v_fma_f64 v[6:7], -v[6:7], v[12:13], v[10:11]
	s_nop 1
	v_div_fmas_f64 v[6:7], v[6:7], v[8:9], v[12:13]
	v_mul_f64 v[8:9], v[46:47], v[23:24]
	v_fma_f64 v[8:9], v[44:45], v[18:19], v[8:9]
	v_div_fixup_f64 v[4:5], v[6:7], v[4:5], v[20:21]
	v_mul_f64 v[6:7], v[46:47], v[18:19]
	v_mul_f64 v[10:11], v[8:9], s[76:77]
	;; [unrolled: 1-line block ×3, first 2 shown]
	v_fma_f64 v[6:7], v[44:45], v[23:24], -v[6:7]
	v_fma_f64 v[10:11], v[6:7], 0, -v[10:11]
	v_fma_f64 v[6:7], v[6:7], s[76:77], v[8:9]
	v_add_f64 v[23:24], v[16:17], v[10:11]
	v_add_f64 v[16:17], v[4:5], v[6:7]
	s_branch .LBB0_107
.LBB0_122:
	s_or_b64 exec, exec, s[78:79]
	buffer_load_dword v10, off, s[0:3], 0 offset:240 ; 4-byte Folded Reload
	buffer_load_dword v11, off, s[0:3], 0 offset:244 ; 4-byte Folded Reload
	v_readlane_b32 s6, v63, 2
	v_readlane_b32 s7, v63, 3
.LBB0_123:
	s_or_b64 exec, exec, s[6:7]
	v_max_f64 v[0:1], v[6:7], v[6:7]
	s_mov_b32 s4, -1
	s_mov_b32 s5, 0xffefffff
	s_waitcnt vmcnt(0)
	v_lshlrev_b64 v[2:3], 2, v[10:11]
	v_mov_b32_e32 v4, s15
	v_max_f64 v[0:1], v[0:1], s[4:5]
	v_cmp_gt_f64_e32 vcc, v[59:60], v[0:1]
	v_cndmask_b32_e32 v1, v1, v60, vcc
	v_cndmask_b32_e32 v0, v0, v59, vcc
	v_cmp_gt_f64_e64 s[4:5], v[57:58], v[0:1]
	v_cndmask_b32_e64 v5, 1, 2, vcc
	v_cndmask_b32_e64 v1, v1, v58, s[4:5]
	v_cndmask_b32_e64 v0, v0, v57, s[4:5]
	v_cmp_ngt_f64_e32 vcc, v[38:39], v[0:1]
	v_cndmask_b32_e64 v5, v5, 3, s[4:5]
	v_cndmask_b32_e32 v5, 4, v5, vcc
	v_add_co_u32_e32 v0, vcc, s14, v2
	v_addc_co_u32_e32 v1, vcc, v4, v3, vcc
	global_store_dword v[0:1], v5, off
.LBB0_124:
	s_endpgm
	.section	.rodata,"a",@progbits
	.p2align	6, 0x0
	.amdhsa_kernel _Z6lookupPKiPKdS0_PiS0_S2_PK6WindowPK4Poleiiiiii
		.amdhsa_group_segment_fixed_size 0
		.amdhsa_private_segment_fixed_size 256
		.amdhsa_kernarg_size 344
		.amdhsa_user_sgpr_count 6
		.amdhsa_user_sgpr_private_segment_buffer 1
		.amdhsa_user_sgpr_dispatch_ptr 0
		.amdhsa_user_sgpr_queue_ptr 0
		.amdhsa_user_sgpr_kernarg_segment_ptr 1
		.amdhsa_user_sgpr_dispatch_id 0
		.amdhsa_user_sgpr_flat_scratch_init 0
		.amdhsa_user_sgpr_private_segment_size 0
		.amdhsa_uses_dynamic_stack 0
		.amdhsa_system_sgpr_private_segment_wavefront_offset 1
		.amdhsa_system_sgpr_workgroup_id_x 1
		.amdhsa_system_sgpr_workgroup_id_y 0
		.amdhsa_system_sgpr_workgroup_id_z 0
		.amdhsa_system_sgpr_workgroup_info 0
		.amdhsa_system_vgpr_workitem_id 0
		.amdhsa_next_free_vgpr 64
		.amdhsa_next_free_sgpr 100
		.amdhsa_reserve_vcc 1
		.amdhsa_reserve_flat_scratch 0
		.amdhsa_float_round_mode_32 0
		.amdhsa_float_round_mode_16_64 0
		.amdhsa_float_denorm_mode_32 3
		.amdhsa_float_denorm_mode_16_64 3
		.amdhsa_dx10_clamp 1
		.amdhsa_ieee_mode 1
		.amdhsa_fp16_overflow 0
		.amdhsa_exception_fp_ieee_invalid_op 0
		.amdhsa_exception_fp_denorm_src 0
		.amdhsa_exception_fp_ieee_div_zero 0
		.amdhsa_exception_fp_ieee_overflow 0
		.amdhsa_exception_fp_ieee_underflow 0
		.amdhsa_exception_fp_ieee_inexact 0
		.amdhsa_exception_int_div_zero 0
	.end_amdhsa_kernel
	.text
.Lfunc_end0:
	.size	_Z6lookupPKiPKdS0_PiS0_S2_PK6WindowPK4Poleiiiiii, .Lfunc_end0-_Z6lookupPKiPKdS0_PiS0_S2_PK6WindowPK4Poleiiiiii
                                        ; -- End function
	.set _Z6lookupPKiPKdS0_PiS0_S2_PK6WindowPK4Poleiiiiii.num_vgpr, 64
	.set _Z6lookupPKiPKdS0_PiS0_S2_PK6WindowPK4Poleiiiiii.num_agpr, 0
	.set _Z6lookupPKiPKdS0_PiS0_S2_PK6WindowPK4Poleiiiiii.numbered_sgpr, 100
	.set _Z6lookupPKiPKdS0_PiS0_S2_PK6WindowPK4Poleiiiiii.num_named_barrier, 0
	.set _Z6lookupPKiPKdS0_PiS0_S2_PK6WindowPK4Poleiiiiii.private_seg_size, 256
	.set _Z6lookupPKiPKdS0_PiS0_S2_PK6WindowPK4Poleiiiiii.uses_vcc, 1
	.set _Z6lookupPKiPKdS0_PiS0_S2_PK6WindowPK4Poleiiiiii.uses_flat_scratch, 0
	.set _Z6lookupPKiPKdS0_PiS0_S2_PK6WindowPK4Poleiiiiii.has_dyn_sized_stack, 0
	.set _Z6lookupPKiPKdS0_PiS0_S2_PK6WindowPK4Poleiiiiii.has_recursion, 0
	.set _Z6lookupPKiPKdS0_PiS0_S2_PK6WindowPK4Poleiiiiii.has_indirect_call, 0
	.section	.AMDGPU.csdata,"",@progbits
; Kernel info:
; codeLenInByte = 31200
; TotalNumSgprs: 104
; NumVgprs: 64
; ScratchSize: 256
; MemoryBound: 1
; FloatMode: 240
; IeeeMode: 1
; LDSByteSize: 0 bytes/workgroup (compile time only)
; SGPRBlocks: 12
; VGPRBlocks: 15
; NumSGPRsForWavesPerEU: 104
; NumVGPRsForWavesPerEU: 64
; Occupancy: 4
; WaveLimiterHint : 1
; COMPUTE_PGM_RSRC2:SCRATCH_EN: 1
; COMPUTE_PGM_RSRC2:USER_SGPR: 6
; COMPUTE_PGM_RSRC2:TRAP_HANDLER: 0
; COMPUTE_PGM_RSRC2:TGID_X_EN: 1
; COMPUTE_PGM_RSRC2:TGID_Y_EN: 0
; COMPUTE_PGM_RSRC2:TGID_Z_EN: 0
; COMPUTE_PGM_RSRC2:TIDIG_COMP_CNT: 0
	.section	.AMDGPU.gpr_maximums,"",@progbits
	.set amdgpu.max_num_vgpr, 0
	.set amdgpu.max_num_agpr, 0
	.set amdgpu.max_num_sgpr, 0
	.section	.AMDGPU.csdata,"",@progbits
	.type	__const._Z14fast_nuclear_W9RSComplex.an,@object ; @__const._Z14fast_nuclear_W9RSComplex.an
	.section	.rodata,"a",@progbits
	.p2align	4, 0x0
__const._Z14fast_nuclear_W9RSComplex.an:
	.quad	0x3fd1a75da77b03ac              ; double 0.27584019999999998
	.quad	0x3fccbed740c4156e              ; double 0.224574
	;; [unrolled: 1-line block ×9, first 2 shown]
	.quad	0x3f346e6a1e8a624d              ; double 3.1175700000000002E-4
	.size	__const._Z14fast_nuclear_W9RSComplex.an, 80

	.type	__const._Z14fast_nuclear_W9RSComplex.neg_1n,@object ; @__const._Z14fast_nuclear_W9RSComplex.neg_1n
	.p2align	4, 0x0
__const._Z14fast_nuclear_W9RSComplex.neg_1n:
	.quad	0xbff0000000000000              ; double -1
	.quad	0x3ff0000000000000              ; double 1
	.quad	0xbff0000000000000              ; double -1
	.quad	0x3ff0000000000000              ; double 1
	;; [unrolled: 2-line block ×5, first 2 shown]
	.size	__const._Z14fast_nuclear_W9RSComplex.neg_1n, 80

	.type	__const._Z14fast_nuclear_W9RSComplex.denominator_left,@object ; @__const._Z14fast_nuclear_W9RSComplex.denominator_left
	.p2align	4, 0x0
__const._Z14fast_nuclear_W9RSComplex.denominator_left:
	.quad	0x4023bd3cbc48f10b              ; double 9.8696040000000007
	.quad	0x4043bd3cddd6e04c              ; double 39.47842
	;; [unrolled: 1-line block ×10, first 2 shown]
	.size	__const._Z14fast_nuclear_W9RSComplex.denominator_left, 80

	.type	__hip_cuid_ed445a07228bd29c,@object ; @__hip_cuid_ed445a07228bd29c
	.section	.bss,"aw",@nobits
	.globl	__hip_cuid_ed445a07228bd29c
__hip_cuid_ed445a07228bd29c:
	.byte	0                               ; 0x0
	.size	__hip_cuid_ed445a07228bd29c, 1

	.ident	"AMD clang version 22.0.0git (https://github.com/RadeonOpenCompute/llvm-project roc-7.2.4 26084 f58b06dce1f9c15707c5f808fd002e18c2accf7e)"
	.section	".note.GNU-stack","",@progbits
	.addrsig
	.addrsig_sym __hip_cuid_ed445a07228bd29c
	.amdgpu_metadata
---
amdhsa.kernels:
  - .args:
      - .actual_access:  read_only
        .address_space:  global
        .offset:         0
        .size:           8
        .value_kind:     global_buffer
      - .actual_access:  read_only
        .address_space:  global
        .offset:         8
        .size:           8
        .value_kind:     global_buffer
      - .actual_access:  read_only
        .address_space:  global
        .offset:         16
        .size:           8
        .value_kind:     global_buffer
      - .actual_access:  write_only
        .address_space:  global
        .offset:         24
        .size:           8
        .value_kind:     global_buffer
      - .actual_access:  read_only
        .address_space:  global
        .offset:         32
        .size:           8
        .value_kind:     global_buffer
      - .actual_access:  read_only
        .address_space:  global
        .offset:         40
        .size:           8
        .value_kind:     global_buffer
      - .actual_access:  read_only
        .address_space:  global
        .offset:         48
        .size:           8
        .value_kind:     global_buffer
      - .actual_access:  read_only
        .address_space:  global
        .offset:         56
        .size:           8
        .value_kind:     global_buffer
      - .offset:         64
        .size:           4
        .value_kind:     by_value
      - .offset:         68
        .size:           4
        .value_kind:     by_value
      - .offset:         72
        .size:           4
        .value_kind:     by_value
      - .offset:         76
        .size:           4
        .value_kind:     by_value
      - .offset:         80
        .size:           4
        .value_kind:     by_value
      - .offset:         84
        .size:           4
        .value_kind:     by_value
      - .offset:         88
        .size:           4
        .value_kind:     hidden_block_count_x
      - .offset:         92
        .size:           4
        .value_kind:     hidden_block_count_y
      - .offset:         96
        .size:           4
        .value_kind:     hidden_block_count_z
      - .offset:         100
        .size:           2
        .value_kind:     hidden_group_size_x
      - .offset:         102
        .size:           2
        .value_kind:     hidden_group_size_y
      - .offset:         104
        .size:           2
        .value_kind:     hidden_group_size_z
      - .offset:         106
        .size:           2
        .value_kind:     hidden_remainder_x
      - .offset:         108
        .size:           2
        .value_kind:     hidden_remainder_y
      - .offset:         110
        .size:           2
        .value_kind:     hidden_remainder_z
      - .offset:         128
        .size:           8
        .value_kind:     hidden_global_offset_x
      - .offset:         136
        .size:           8
        .value_kind:     hidden_global_offset_y
      - .offset:         144
        .size:           8
        .value_kind:     hidden_global_offset_z
      - .offset:         152
        .size:           2
        .value_kind:     hidden_grid_dims
    .group_segment_fixed_size: 0
    .kernarg_segment_align: 8
    .kernarg_segment_size: 344
    .language:       OpenCL C
    .language_version:
      - 2
      - 0
    .max_flat_workgroup_size: 1024
    .name:           _Z6lookupPKiPKdS0_PiS0_S2_PK6WindowPK4Poleiiiiii
    .private_segment_fixed_size: 256
    .sgpr_count:     104
    .sgpr_spill_count: 6
    .symbol:         _Z6lookupPKiPKdS0_PiS0_S2_PK6WindowPK4Poleiiiiii.kd
    .uniform_work_group_size: 1
    .uses_dynamic_stack: false
    .vgpr_count:     64
    .vgpr_spill_count: 47
    .wavefront_size: 64
amdhsa.target:   amdgcn-amd-amdhsa--gfx906
amdhsa.version:
  - 1
  - 2
...

	.end_amdgpu_metadata
